;; amdgpu-corpus repo=ROCm/rocFFT kind=compiled arch=gfx1030 opt=O3
	.text
	.amdgcn_target "amdgcn-amd-amdhsa--gfx1030"
	.amdhsa_code_object_version 6
	.protected	bluestein_single_fwd_len1375_dim1_sp_op_CI_CI ; -- Begin function bluestein_single_fwd_len1375_dim1_sp_op_CI_CI
	.globl	bluestein_single_fwd_len1375_dim1_sp_op_CI_CI
	.p2align	8
	.type	bluestein_single_fwd_len1375_dim1_sp_op_CI_CI,@function
bluestein_single_fwd_len1375_dim1_sp_op_CI_CI: ; @bluestein_single_fwd_len1375_dim1_sp_op_CI_CI
; %bb.0:
	s_load_dwordx4 s[8:11], s[4:5], 0x28
	v_mul_u32_u24_e32 v1, 0x4a8, v0
	s_mov_b64 s[22:23], s[2:3]
	s_mov_b64 s[20:21], s[0:1]
	v_mov_b32_e32 v8, 0
	s_add_u32 s20, s20, s7
	v_lshrrev_b32_e32 v1, 16, v1
	s_addc_u32 s21, s21, 0
	s_mov_b32 s0, exec_lo
	v_add_nc_u32_e32 v7, s6, v1
	s_waitcnt lgkmcnt(0)
	v_cmpx_gt_u64_e64 s[8:9], v[7:8]
	s_cbranch_execz .LBB0_15
; %bb.1:
	s_clause 0x1
	s_load_dwordx4 s[0:3], s[4:5], 0x18
	s_load_dwordx2 s[6:7], s[4:5], 0x0
	v_mul_lo_u16 v1, v1, 55
	v_sub_nc_u16 v2, v0, v1
	v_and_b32_e32 v132, 0xffff, v2
	v_lshlrev_b32_e32 v235, 3, v132
	s_waitcnt lgkmcnt(0)
	s_load_dwordx4 s[12:15], s[0:1], 0x0
	s_clause 0x4
	global_load_dwordx2 v[219:220], v235, s[6:7]
	global_load_dwordx2 v[212:213], v235, s[6:7] offset:2000
	global_load_dwordx2 v[63:64], v235, s[6:7] offset:1440
	;; [unrolled: 1-line block ×4, first 2 shown]
	v_add_co_u32 v178, s0, s6, v235
	v_add_co_ci_u32_e64 v179, null, s7, 0, s0
	v_add_co_u32 v5, vcc_lo, 0x800, v178
	v_add_co_ci_u32_e32 v6, vcc_lo, 0, v179, vcc_lo
	v_add_co_u32 v10, vcc_lo, 0x1000, v178
	v_add_co_ci_u32_e32 v11, vcc_lo, 0, v179, vcc_lo
	v_add_co_u32 v8, vcc_lo, 0x1800, v178
	v_add_co_ci_u32_e32 v9, vcc_lo, 0, v179, vcc_lo
	v_add_co_u32 v43, vcc_lo, 0x2000, v178
	v_add_co_ci_u32_e32 v44, vcc_lo, 0, v179, vcc_lo
	s_clause 0x6
	global_load_dwordx2 v[225:226], v[5:6], off offset:1952
	global_load_dwordx2 v[221:222], v[10:11], off offset:1904
	;; [unrolled: 1-line block ×7, first 2 shown]
	buffer_store_dword v5, off, s[20:23], 0 offset:28 ; 4-byte Folded Spill
	buffer_store_dword v6, off, s[20:23], 0 offset:32 ; 4-byte Folded Spill
	s_waitcnt lgkmcnt(0)
	v_mad_u64_u32 v[0:1], null, s14, v7, 0
	v_mad_u64_u32 v[3:4], null, s12, v132, 0
	s_mul_i32 s1, s13, 0x7d
	s_mul_hi_u32 s9, s12, 0x7d
	s_mul_i32 s0, s12, 0x7d
	s_add_i32 s1, s9, s1
	s_mul_i32 s14, s13, 0xfffffb55
	s_lshl_b64 s[16:17], s[0:1], 3
	s_mul_i32 s8, s12, 0xfffffb55
	s_clause 0x1
	global_load_dwordx2 v[206:207], v[5:6], off offset:392
	global_load_dwordx2 v[59:60], v[10:11], off offset:1344
	v_mov_b32_e32 v5, v7
	buffer_store_dword v5, off, s[20:23], 0 offset:100 ; 4-byte Folded Spill
	buffer_store_dword v6, off, s[20:23], 0 offset:104 ; 4-byte Folded Spill
	global_load_dwordx2 v[229:230], v[10:11], off offset:904
	buffer_store_dword v10, off, s[20:23], 0 offset:20 ; 4-byte Folded Spill
	buffer_store_dword v11, off, s[20:23], 0 offset:24 ; 4-byte Folded Spill
	v_mad_u64_u32 v[5:6], null, s15, v7, v[1:2]
	s_mul_hi_u32 s15, s12, 0xfffffb55
	s_sub_i32 s0, s15, s12
	s_add_i32 s9, s0, s14
	v_mad_u64_u32 v[6:7], null, s13, v132, v[4:5]
	v_mov_b32_e32 v1, v5
	s_lshl_b64 s[0:1], s[8:9], 3
	v_lshlrev_b64 v[0:1], 3, v[0:1]
	v_mov_b32_e32 v4, v6
	v_lshlrev_b64 v[5:6], 3, v[3:4]
	v_add_co_u32 v3, vcc_lo, s10, v0
	v_add_co_ci_u32_e32 v4, vcc_lo, s11, v1, vcc_lo
	v_add_co_u32 v0, vcc_lo, v3, v5
	v_add_co_ci_u32_e32 v1, vcc_lo, v4, v6, vcc_lo
	;; [unrolled: 2-line block ×3, first 2 shown]
	v_add_co_u32 v7, vcc_lo, v5, s16
	s_clause 0x2
	global_load_dwordx2 v[69:70], v[10:11], off offset:344
	global_load_dwordx2 v[55:56], v[8:9], off offset:1296
	;; [unrolled: 1-line block ×3, first 2 shown]
	buffer_store_dword v8, off, s[20:23], 0 offset:12 ; 4-byte Folded Spill
	buffer_store_dword v9, off, s[20:23], 0 offset:16 ; 4-byte Folded Spill
	global_load_dwordx2 v[57:58], v[8:9], off offset:296
	v_add_co_ci_u32_e32 v8, vcc_lo, s17, v6, vcc_lo
	v_add_co_u32 v9, vcc_lo, v7, s16
	v_add_co_ci_u32_e32 v10, vcc_lo, s17, v8, vcc_lo
	v_add_co_u32 v11, vcc_lo, v9, s16
	s_clause 0x2
	global_load_dwordx2 v[13:14], v[0:1], off
	global_load_dwordx2 v[5:6], v[5:6], off
	;; [unrolled: 1-line block ×3, first 2 shown]
	v_add_co_ci_u32_e32 v12, vcc_lo, s17, v10, vcc_lo
	v_add_co_u32 v0, vcc_lo, v11, s16
	global_load_dwordx2 v[9:10], v[9:10], off
	v_add_co_ci_u32_e32 v1, vcc_lo, s17, v12, vcc_lo
	global_load_dwordx2 v[11:12], v[11:12], off
	v_add_co_u32 v15, vcc_lo, v0, s16
	v_add_co_ci_u32_e32 v16, vcc_lo, s17, v1, vcc_lo
	global_load_dwordx2 v[19:20], v[0:1], off
	v_add_co_u32 v17, vcc_lo, v15, s16
	;; [unrolled: 3-line block ×11, first 2 shown]
	v_add_co_ci_u32_e32 v36, vcc_lo, s17, v34, vcc_lo
	global_load_dwordx2 v[33:34], v[33:34], off
	global_load_dwordx2 v[65:66], v[43:44], off offset:1248
	buffer_store_dword v43, off, s[20:23], 0 offset:4 ; 4-byte Folded Spill
	buffer_store_dword v44, off, s[20:23], 0 offset:8 ; 4-byte Folded Spill
	v_add_co_u32 v0, vcc_lo, v35, s16
	v_add_co_ci_u32_e32 v1, vcc_lo, s17, v36, vcc_lo
	v_add_co_u32 v39, vcc_lo, v0, s16
	v_add_co_ci_u32_e32 v40, vcc_lo, s17, v1, vcc_lo
	;; [unrolled: 2-line block ×3, first 2 shown]
	global_load_dwordx2 v[67:68], v[43:44], off offset:248
	global_load_dwordx2 v[35:36], v[35:36], off
	global_load_dwordx2 v[43:44], v[0:1], off
	;; [unrolled: 1-line block ×4, first 2 shown]
	s_waitcnt vmcnt(20)
	v_mul_f32_e32 v51, v6, v232
	v_mul_f32_e32 v49, v14, v220
	;; [unrolled: 1-line block ×3, first 2 shown]
	s_waitcnt vmcnt(19)
	v_mul_f32_e32 v53, v8, v213
	v_mul_f32_e32 v54, v7, v213
	v_fmac_f32_e32 v51, v5, v231
	s_waitcnt vmcnt(18)
	v_mul_f32_e32 v5, v10, v228
	v_add_co_u32 v41, vcc_lo, v41, s16
	v_mul_f32_e32 v50, v13, v220
	v_fmac_f32_e32 v49, v13, v219
	v_fma_f32 v52, v6, v231, -v52
	v_mul_f32_e32 v6, v9, v228
	v_fmac_f32_e32 v5, v9, v227
	s_waitcnt vmcnt(16)
	v_mul_f32_e32 v9, v20, v230
	v_mul_f32_e32 v13, v19, v230
	v_add_co_ci_u32_e32 v42, vcc_lo, s17, v42, vcc_lo
	v_fmac_f32_e32 v53, v7, v212
	v_fma_f32 v54, v8, v212, -v54
	v_mul_f32_e32 v7, v12, v226
	v_mul_f32_e32 v8, v11, v226
	v_add_co_u32 v47, vcc_lo, 0x2800, v178
	v_add_co_ci_u32_e32 v48, vcc_lo, 0, v179, vcc_lo
	v_add_co_u32 v0, vcc_lo, v41, s16
	v_fma_f32 v6, v10, v227, -v6
	v_fmac_f32_e32 v9, v19, v229
	v_fma_f32 v10, v20, v229, -v13
	v_fmac_f32_e32 v7, v11, v225
	v_fma_f32 v8, v12, v225, -v8
	v_add_co_ci_u32_e32 v1, vcc_lo, s17, v42, vcc_lo
	global_load_dwordx2 v[41:42], v[41:42], off
	global_load_dwordx2 v[204:205], v[47:48], off offset:200
	global_load_dwordx2 v[47:48], v[0:1], off
	s_load_dwordx2 s[14:15], s[4:5], 0x38
	s_load_dwordx4 s[8:11], s[2:3], 0x0
	ds_write_b64 v235, v[51:52] offset:1000
	ds_write_b64 v235, v[53:54] offset:2000
	s_waitcnt vmcnt(18)
	v_mul_f32_e32 v11, v16, v222
	ds_write_b64 v235, v[5:6] offset:3000
	ds_write_b64 v235, v[7:8] offset:4000
	v_mul_f32_e32 v6, v15, v222
	ds_write_b64 v235, v[9:10] offset:5000
	s_waitcnt vmcnt(17)
	v_mul_f32_e32 v8, v17, v224
	s_waitcnt vmcnt(16)
	v_mul_f32_e32 v7, v26, v217
	v_mul_f32_e32 v9, v25, v217
	;; [unrolled: 1-line block ×3, first 2 shown]
	v_fmac_f32_e32 v11, v15, v221
	v_fma_f32 v12, v16, v221, -v6
	v_fma_f32 v6, v18, v223, -v8
	v_fmac_f32_e32 v7, v25, v216
	v_fma_f32 v8, v26, v216, -v9
	v_fmac_f32_e32 v5, v17, v223
	s_waitcnt vmcnt(15)
	v_mul_f32_e32 v9, v22, v215
	ds_write_b64 v235, v[11:12] offset:6000
	ds_write_b64 v235, v[5:6] offset:7000
	v_mul_f32_e32 v6, v21, v215
	ds_write_b64 v235, v[7:8] offset:8000
	s_waitcnt vmcnt(14)
	v_mul_f32_e32 v8, v23, v211
	s_waitcnt vmcnt(13)
	v_mul_f32_e32 v7, v32, v209
	v_mul_f32_e32 v11, v31, v209
	v_mul_f32_e32 v5, v24, v211
	v_fma_f32 v50, v14, v219, -v50
	v_fmac_f32_e32 v9, v21, v214
	v_fma_f32 v10, v22, v214, -v6
	v_fma_f32 v6, v24, v210, -v8
	v_fmac_f32_e32 v7, v31, v208
	v_fma_f32 v8, v32, v208, -v11
	v_fmac_f32_e32 v5, v23, v210
	s_waitcnt vmcnt(12)
	v_mul_f32_e32 v11, v28, v64
	ds_write_b64 v235, v[9:10] offset:9000
	ds_write_b64 v235, v[5:6] offset:10000
	ds_write2_b64 v235, v[49:50], v[7:8] offset1:55
	s_waitcnt vmcnt(10)
	v_mul_f32_e32 v7, v38, v62
	v_mul_f32_e32 v6, v27, v64
	v_fmac_f32_e32 v11, v27, v63
	v_mul_f32_e32 v9, v37, v62
	buffer_store_dword v63, off, s[20:23], 0 offset:68 ; 4-byte Folded Spill
	buffer_store_dword v64, off, s[20:23], 0 offset:72 ; 4-byte Folded Spill
	v_fmac_f32_e32 v7, v37, v61
	buffer_store_dword v61, off, s[20:23], 0 offset:60 ; 4-byte Folded Spill
	buffer_store_dword v62, off, s[20:23], 0 offset:64 ; 4-byte Folded Spill
	v_mul_f32_e32 v8, v29, v207
	v_mul_f32_e32 v5, v30, v207
	s_waitcnt vmcnt(9)
	v_mul_f32_e32 v10, v33, v70
	v_cmp_gt_u16_e32 vcc_lo, 15, v2
	v_or_b32_e32 v2, 0x550, v132
	v_fmac_f32_e32 v5, v29, v206
	v_fma_f32 v12, v28, v63, -v6
	v_fma_f32 v6, v30, v206, -v8
	;; [unrolled: 1-line block ×3, first 2 shown]
	v_mul_f32_e32 v9, v34, v70
	ds_write_b64 v235, v[11:12] offset:1440
	ds_write_b64 v235, v[5:6] offset:2440
	;; [unrolled: 1-line block ×3, first 2 shown]
	s_waitcnt vmcnt(6)
	v_mul_f32_e32 v5, v36, v60
	s_waitcnt vmcnt(5)
	v_mul_f32_e32 v7, v44, v58
	v_fmac_f32_e32 v9, v33, v69
	buffer_store_dword v69, off, s[20:23], 0 offset:92 ; 4-byte Folded Spill
	buffer_store_dword v70, off, s[20:23], 0 offset:96 ; 4-byte Folded Spill
	v_mul_f32_e32 v6, v35, v60
	v_fmac_f32_e32 v5, v35, v59
	v_mul_f32_e32 v8, v43, v58
	v_fmac_f32_e32 v7, v43, v57
	s_waitcnt vmcnt(0)
	v_mul_f32_e32 v11, v48, v205
	v_mul_f32_e32 v12, v47, v205
	v_fmac_f32_e32 v11, v47, v204
	v_fma_f32 v12, v48, v204, -v12
	v_fma_f32 v10, v34, v69, -v10
	ds_write_b64 v235, v[9:10] offset:4440
	buffer_store_dword v59, off, s[20:23], 0 offset:52 ; 4-byte Folded Spill
	buffer_store_dword v60, off, s[20:23], 0 offset:56 ; 4-byte Folded Spill
	;; [unrolled: 1-line block ×4, first 2 shown]
	v_mul_f32_e32 v9, v40, v56
	v_mul_f32_e32 v10, v39, v56
	v_fmac_f32_e32 v9, v39, v55
	v_fma_f32 v6, v36, v59, -v6
	v_fma_f32 v8, v44, v57, -v8
	ds_write_b64 v235, v[5:6] offset:5440
	v_mul_f32_e32 v5, v46, v68
	ds_write_b64 v235, v[7:8] offset:6440
	v_mul_f32_e32 v7, v42, v66
	buffer_store_dword v55, off, s[20:23], 0 offset:36 ; 4-byte Folded Spill
	buffer_store_dword v56, off, s[20:23], 0 offset:40 ; 4-byte Folded Spill
	v_mul_f32_e32 v6, v45, v68
	v_fmac_f32_e32 v5, v45, v67
	buffer_store_dword v67, off, s[20:23], 0 offset:84 ; 4-byte Folded Spill
	buffer_store_dword v68, off, s[20:23], 0 offset:88 ; 4-byte Folded Spill
	v_mul_f32_e32 v8, v41, v66
	v_fmac_f32_e32 v7, v41, v65
	buffer_store_dword v65, off, s[20:23], 0 offset:76 ; 4-byte Folded Spill
	buffer_store_dword v66, off, s[20:23], 0 offset:80 ; 4-byte Folded Spill
	;; [unrolled: 1-line block ×3, first 2 shown]
	v_fma_f32 v10, v40, v55, -v10
	v_fma_f32 v6, v46, v67, -v6
	;; [unrolled: 1-line block ×3, first 2 shown]
	ds_write_b64 v235, v[9:10] offset:7440
	ds_write_b64 v235, v[5:6] offset:8440
	ds_write_b64 v235, v[7:8] offset:9440
	ds_write_b64 v235, v[11:12] offset:10440
	s_and_saveexec_b32 s2, vcc_lo
	s_cbranch_execz .LBB0_3
; %bb.2:
	v_add_co_u32 v0, s0, v0, s0
	v_add_co_ci_u32_e64 v1, s0, s1, v1, s0
	v_or_b32_e32 v40, 0x550, v132
	v_add_co_u32 v5, s0, v0, s16
	v_add_co_ci_u32_e64 v6, s0, s17, v1, s0
	global_load_dwordx2 v[0:1], v[0:1], off
	v_add_co_u32 v7, s0, v5, s16
	v_add_co_ci_u32_e64 v8, s0, s17, v6, s0
	global_load_dwordx2 v[5:6], v[5:6], off
	v_add_co_u32 v9, s0, v7, s16
	v_add_co_ci_u32_e64 v10, s0, s17, v8, s0
	v_mad_u64_u32 v[11:12], null, s12, v40, 0
	v_add_co_u32 v13, s0, v9, s16
	v_add_co_ci_u32_e64 v14, s0, s17, v10, s0
	s_clause 0x1
	global_load_dwordx2 v[15:16], v[178:179], off offset:880
	global_load_dwordx2 v[17:18], v[178:179], off offset:1880
	global_load_dwordx2 v[7:8], v[7:8], off
	global_load_dwordx2 v[9:10], v[9:10], off
	;; [unrolled: 1-line block ×3, first 2 shown]
	s_clause 0x1
	buffer_load_dword v24, off, s[20:23], 0 offset:28
	buffer_load_dword v25, off, s[20:23], 0 offset:32
	v_mov_b32_e32 v2, v12
	v_add_co_u32 v12, s0, v13, s16
	v_add_co_ci_u32_e64 v13, s0, s17, v14, s0
	v_mad_u64_u32 v[21:22], null, s13, v40, v[2:3]
	v_add_co_u32 v30, s0, v12, s16
	v_add_co_ci_u32_e64 v31, s0, s17, v13, s0
	v_add_nc_u32_e32 v48, 0x800, v235
	v_add_nc_u32_e32 v49, 0x1000, v235
	;; [unrolled: 1-line block ×3, first 2 shown]
	s_waitcnt vmcnt(0)
	s_clause 0x1
	global_load_dwordx2 v[22:23], v[24:25], off offset:832
	global_load_dwordx2 v[24:25], v[24:25], off offset:1832
	s_clause 0x1
	buffer_load_dword v32, off, s[20:23], 0 offset:20
	buffer_load_dword v33, off, s[20:23], 0 offset:24
	v_mul_f32_e32 v46, v1, v16
	v_mul_f32_e32 v16, v0, v16
	s_waitcnt vmcnt(0)
	global_load_dwordx2 v[26:27], v[32:33], off offset:784
	global_load_dwordx2 v[28:29], v[12:13], off
	v_add_co_u32 v13, s0, v30, s16
	v_add_co_ci_u32_e64 v14, s0, s17, v31, s0
	global_load_dwordx2 v[30:31], v[30:31], off
	global_load_dwordx2 v[32:33], v[32:33], off offset:1784
	s_clause 0x1
	buffer_load_dword v38, off, s[20:23], 0 offset:12
	buffer_load_dword v39, off, s[20:23], 0 offset:16
	v_mov_b32_e32 v12, v21
	v_fmac_f32_e32 v46, v0, v15
	v_fma_f32 v47, v1, v15, -v16
	v_mul_f32_e32 v0, v8, v23
	v_mul_f32_e32 v1, v7, v23
	v_lshlrev_b64 v[11:12], 3, v[11:12]
	v_add_nc_u32_e32 v23, 0x2000, v235
	s_waitcnt vmcnt(0)
	global_load_dwordx2 v[34:35], v[38:39], off offset:736
	global_load_dwordx2 v[36:37], v[13:14], off
	v_add_co_u32 v2, s0, v3, v11
	v_add_co_ci_u32_e64 v3, s0, v4, v12, s0
	v_add_co_u32 v11, s0, v13, s16
	v_add_co_ci_u32_e64 v12, s0, s17, v14, s0
	v_lshlrev_b32_e32 v4, 3, v40
	v_add_co_u32 v40, s0, v11, s16
	global_load_dwordx2 v[2:3], v[2:3], off
	s_clause 0x1
	global_load_dwordx2 v[13:14], v4, s[6:7]
	global_load_dwordx2 v[38:39], v[38:39], off offset:1736
	v_add_co_ci_u32_e64 v41, s0, s17, v12, s0
	global_load_dwordx2 v[11:12], v[11:12], off
	s_clause 0x1
	buffer_load_dword v44, off, s[20:23], 0 offset:4
	buffer_load_dword v45, off, s[20:23], 0 offset:8
	v_mul_f32_e32 v4, v6, v18
	v_mul_f32_e32 v18, v5, v18
	;; [unrolled: 1-line block ×3, first 2 shown]
	v_fmac_f32_e32 v0, v7, v22
	v_fma_f32 v1, v8, v22, -v1
	v_fmac_f32_e32 v4, v5, v17
	v_fma_f32 v5, v6, v17, -v18
	v_mul_f32_e32 v6, v10, v25
	v_mul_f32_e32 v8, v29, v33
	s_waitcnt vmcnt(0)
	s_clause 0x1
	global_load_dwordx2 v[42:43], v[44:45], off offset:688
	global_load_dwordx2 v[44:45], v[44:45], off offset:1688
	global_load_dwordx2 v[40:41], v[40:41], off
	ds_write2_b64 v235, v[46:47], v[4:5] offset0:110 offset1:235
	v_mul_f32_e32 v5, v9, v25
	v_fmac_f32_e32 v6, v9, v24
	v_mul_f32_e32 v9, v19, v27
	v_mul_f32_e32 v4, v20, v27
	;; [unrolled: 1-line block ×3, first 2 shown]
	v_fma_f32 v7, v10, v24, -v5
	v_mul_f32_e32 v10, v3, v14
	v_fma_f32 v5, v20, v26, -v9
	v_fma_f32 v9, v29, v32, -v15
	v_mul_f32_e32 v15, v31, v35
	v_mul_f32_e32 v17, v37, v39
	;; [unrolled: 1-line block ×3, first 2 shown]
	v_fmac_f32_e32 v4, v19, v26
	v_mul_f32_e32 v14, v2, v14
	v_fmac_f32_e32 v10, v2, v13
	v_fmac_f32_e32 v8, v28, v32
	;; [unrolled: 1-line block ×3, first 2 shown]
	v_fma_f32 v16, v31, v34, -v16
	v_fmac_f32_e32 v17, v36, v38
	v_fma_f32 v18, v37, v38, -v18
	s_waitcnt vmcnt(2)
	v_mul_f32_e32 v19, v12, v43
	v_mul_f32_e32 v2, v11, v43
	s_waitcnt vmcnt(0)
	v_mul_f32_e32 v21, v41, v45
	v_mul_f32_e32 v22, v40, v45
	v_fmac_f32_e32 v19, v11, v42
	v_fma_f32 v20, v12, v42, -v2
	v_fmac_f32_e32 v21, v40, v44
	v_fma_f32 v22, v41, v44, -v22
	v_fma_f32 v11, v3, v13, -v14
	ds_write2_b64 v48, v[0:1], v[6:7] offset0:104 offset1:229
	ds_write2_b64 v49, v[4:5], v[8:9] offset0:98 offset1:223
	;; [unrolled: 1-line block ×4, first 2 shown]
	ds_write_b64 v235, v[10:11] offset:10880
.LBB0_3:
	s_or_b32 exec_lo, exec_lo, s2
	v_add_nc_u32_e32 v4, 0x1400, v235
	v_add_nc_u32_e32 v0, 0x400, v235
	;; [unrolled: 1-line block ×9, first 2 shown]
	s_waitcnt lgkmcnt(0)
	s_waitcnt_vscnt null, 0x0
	s_barrier
	buffer_gl0_inv
	ds_read2_b64 v[44:47], v235 offset1:55
	ds_read2_b64 v[56:59], v235 offset0:125 offset1:180
	ds_read2_b64 v[48:51], v0 offset0:122 offset1:177
	;; [unrolled: 1-line block ×10, first 2 shown]
	s_load_dwordx2 s[2:3], s[4:5], 0x8
	v_mov_b32_e32 v12, 0
	v_mov_b32_e32 v13, 0
                                        ; implicit-def: $vgpr16
                                        ; implicit-def: $vgpr24
                                        ; implicit-def: $vgpr64
                                        ; implicit-def: $vgpr30
                                        ; implicit-def: $vgpr34
	s_and_saveexec_b32 s0, vcc_lo
	s_cbranch_execz .LBB0_5
; %bb.4:
	ds_read2_b64 v[12:15], v235 offset0:110 offset1:235
	ds_read2_b64 v[32:35], v17 offset0:104 offset1:229
	;; [unrolled: 1-line block ×5, first 2 shown]
	ds_read_b64 v[64:65], v235 offset:10880
.LBB0_5:
	s_or_b32 exec_lo, exec_lo, s0
	s_waitcnt lgkmcnt(0)
	v_add_f32_e32 v66, v44, v56
	v_add_f32_e32 v67, v45, v57
	v_sub_f32_e32 v69, v57, v61
	v_add_f32_e32 v71, v61, v57
	v_sub_f32_e32 v70, v56, v60
	v_add_f32_e32 v66, v66, v48
	v_add_f32_e32 v67, v67, v49
	v_add_co_u32 v115, s0, v132, 55
	v_add_co_ci_u32_e64 v68, null, 0, 0, s0
	v_add_f32_e32 v66, v66, v36
	v_add_f32_e32 v67, v67, v37
	;; [unrolled: 1-line block ×3, first 2 shown]
	v_mul_f32_e32 v56, 0xbf0a6770, v69
	v_mul_f32_e32 v73, 0xbf68dda4, v70
	v_add_f32_e32 v66, v66, v8
	v_add_f32_e32 v67, v67, v9
	v_mul_f32_e32 v72, 0xbf68dda4, v69
	v_fma_f32 v75, 0x3f575c64, v68, -v56
	v_fmac_f32_e32 v56, 0x3f575c64, v68
	v_add_f32_e32 v57, v66, v0
	v_add_f32_e32 v66, v67, v1
	v_fmamk_f32 v78, v71, 0x3ed4b147, v73
	v_mul_f32_e32 v67, 0xbf0a6770, v70
	v_mul_f32_e32 v74, 0xbf7d64f0, v69
	v_add_f32_e32 v57, v57, v4
	v_add_f32_e32 v66, v66, v5
	;; [unrolled: 1-line block ×3, first 2 shown]
	v_mul_f32_e32 v82, 0xbf4178ce, v70
	v_fmamk_f32 v76, v71, 0x3f575c64, v67
	v_add_f32_e32 v57, v57, v20
	v_add_f32_e32 v66, v66, v21
	v_fma_f32 v67, 0x3f575c64, v71, -v67
	v_fma_f32 v77, 0x3ed4b147, v68, -v72
	v_fmac_f32_e32 v72, 0x3ed4b147, v68
	v_add_f32_e32 v57, v57, v40
	v_add_f32_e32 v66, v66, v41
	v_fmamk_f32 v83, v71, 0xbf27a4f4, v82
	v_fma_f32 v82, 0xbf27a4f4, v71, -v82
	v_sub_f32_e32 v86, v49, v53
	v_add_f32_e32 v57, v57, v52
	v_add_f32_e32 v66, v66, v53
	;; [unrolled: 1-line block ×3, first 2 shown]
	v_sub_f32_e32 v48, v48, v52
	v_add_f32_e32 v76, v45, v76
	v_add_f32_e32 v56, v57, v60
	;; [unrolled: 1-line block ×3, first 2 shown]
	v_fma_f32 v60, 0x3ed4b147, v71, -v73
	v_add_f32_e32 v61, v45, v78
	v_mul_f32_e32 v73, 0xbf7d64f0, v70
	v_mul_f32_e32 v78, 0xbf4178ce, v69
	;; [unrolled: 1-line block ×4, first 2 shown]
	v_fma_f32 v66, 0xbe11bafb, v68, -v74
	v_fmamk_f32 v80, v71, 0xbe11bafb, v73
	v_fmac_f32_e32 v74, 0xbe11bafb, v68
	v_fma_f32 v73, 0xbe11bafb, v71, -v73
	v_fma_f32 v81, 0xbf27a4f4, v68, -v78
	v_fmac_f32_e32 v78, 0xbf27a4f4, v68
	v_fma_f32 v84, 0xbf75a155, v68, -v69
	v_fmamk_f32 v85, v71, 0xbf75a155, v70
	v_fmac_f32_e32 v69, 0xbf75a155, v68
	v_fma_f32 v68, 0xbf75a155, v71, -v70
	v_add_f32_e32 v67, v45, v67
	v_add_f32_e32 v60, v45, v60
	;; [unrolled: 1-line block ×7, first 2 shown]
	v_mul_f32_e32 v52, 0xbf68dda4, v86
	v_add_f32_e32 v49, v53, v49
	v_mul_f32_e32 v53, 0xbf68dda4, v48
	v_add_f32_e32 v45, v45, v68
	;; [unrolled: 2-line block ×3, first 2 shown]
	v_add_f32_e32 v77, v44, v77
	v_add_f32_e32 v72, v44, v72
	v_add_f32_e32 v66, v44, v66
	v_add_f32_e32 v74, v44, v74
	v_add_f32_e32 v81, v44, v81
	v_add_f32_e32 v78, v44, v78
	v_add_f32_e32 v84, v44, v84
	v_fma_f32 v70, 0x3ed4b147, v87, -v52
	v_add_f32_e32 v44, v44, v69
	v_fmamk_f32 v69, v49, 0x3ed4b147, v53
	v_fma_f32 v53, 0x3ed4b147, v49, -v53
	v_fma_f32 v71, 0xbf27a4f4, v87, -v68
	v_add_f32_e32 v70, v70, v75
	v_fmac_f32_e32 v52, 0x3ed4b147, v87
	v_mul_f32_e32 v75, 0xbf4178ce, v48
	v_add_f32_e32 v53, v53, v67
	v_add_f32_e32 v67, v71, v77
	v_mul_f32_e32 v71, 0x3e903f40, v86
	v_add_f32_e32 v69, v69, v76
	v_add_f32_e32 v52, v52, v79
	v_fmamk_f32 v76, v49, 0xbf27a4f4, v75
	v_fmac_f32_e32 v68, 0xbf27a4f4, v87
	v_fma_f32 v75, 0xbf27a4f4, v49, -v75
	v_mul_f32_e32 v77, 0x3e903f40, v48
	v_fma_f32 v79, 0xbf75a155, v87, -v71
	v_fmac_f32_e32 v71, 0xbf75a155, v87
	v_add_f32_e32 v61, v76, v61
	v_add_f32_e32 v68, v68, v72
	;; [unrolled: 1-line block ×3, first 2 shown]
	v_fmamk_f32 v72, v49, 0xbf75a155, v77
	v_mul_f32_e32 v75, 0x3f7d64f0, v86
	v_fma_f32 v76, 0xbf75a155, v49, -v77
	v_mul_f32_e32 v77, 0x3f7d64f0, v48
	v_add_f32_e32 v71, v71, v74
	v_mul_f32_e32 v74, 0x3f0a6770, v86
	v_add_f32_e32 v66, v79, v66
	v_add_f32_e32 v72, v72, v80
	v_fma_f32 v79, 0xbe11bafb, v87, -v75
	v_add_f32_e32 v73, v76, v73
	v_fmamk_f32 v76, v49, 0xbe11bafb, v77
	v_fmac_f32_e32 v75, 0xbe11bafb, v87
	v_fma_f32 v77, 0xbe11bafb, v49, -v77
	v_fma_f32 v80, 0x3f575c64, v87, -v74
	v_mul_f32_e32 v48, 0x3f0a6770, v48
	v_add_f32_e32 v79, v79, v81
	v_add_f32_e32 v75, v75, v78
	;; [unrolled: 1-line block ×4, first 2 shown]
	v_sub_f32_e32 v80, v37, v41
	v_sub_f32_e32 v82, v36, v40
	v_fmamk_f32 v81, v49, 0x3f575c64, v48
	v_fmac_f32_e32 v74, 0x3f575c64, v87
	v_add_f32_e32 v36, v40, v36
	v_mul_f32_e32 v40, 0xbf7d64f0, v80
	v_fma_f32 v48, 0x3f575c64, v49, -v48
	v_add_f32_e32 v37, v41, v37
	v_mul_f32_e32 v41, 0xbf7d64f0, v82
	v_add_f32_e32 v49, v81, v85
	v_fma_f32 v81, 0xbe11bafb, v36, -v40
	v_add_f32_e32 v44, v74, v44
	v_add_f32_e32 v45, v48, v45
	v_fmamk_f32 v48, v37, 0xbe11bafb, v41
	v_mul_f32_e32 v74, 0x3e903f40, v80
	v_add_f32_e32 v70, v81, v70
	v_fmac_f32_e32 v40, 0xbe11bafb, v36
	v_fma_f32 v41, 0xbe11bafb, v37, -v41
	v_add_f32_e32 v48, v48, v69
	v_fma_f32 v69, 0xbf75a155, v36, -v74
	v_mul_f32_e32 v81, 0x3e903f40, v82
	v_add_f32_e32 v76, v76, v83
	v_add_f32_e32 v40, v40, v52
	v_add_f32_e32 v41, v41, v53
	v_mul_f32_e32 v52, 0x3f68dda4, v80
	v_add_f32_e32 v53, v69, v67
	v_fmamk_f32 v67, v37, 0xbf75a155, v81
	v_fmac_f32_e32 v74, 0xbf75a155, v36
	v_fma_f32 v69, 0xbf75a155, v37, -v81
	v_mul_f32_e32 v83, 0x3f68dda4, v82
	v_fma_f32 v81, 0x3ed4b147, v36, -v52
	v_add_f32_e32 v61, v67, v61
	v_add_f32_e32 v67, v74, v68
	;; [unrolled: 1-line block ×3, first 2 shown]
	v_fmamk_f32 v68, v37, 0x3ed4b147, v83
	v_mul_f32_e32 v69, 0xbf0a6770, v80
	v_add_f32_e32 v66, v81, v66
	v_mul_f32_e32 v81, 0xbf0a6770, v82
	v_fmac_f32_e32 v52, 0x3ed4b147, v36
	v_add_f32_e32 v68, v68, v72
	v_fma_f32 v72, 0x3f575c64, v36, -v69
	v_fma_f32 v74, 0x3ed4b147, v37, -v83
	v_fmac_f32_e32 v69, 0x3f575c64, v36
	v_add_f32_e32 v52, v52, v71
	v_sub_f32_e32 v86, v51, v55
	v_add_f32_e32 v72, v72, v79
	v_fma_f32 v79, 0x3f575c64, v37, -v81
	v_add_f32_e32 v71, v74, v73
	v_fmamk_f32 v73, v37, 0x3f575c64, v81
	v_mul_f32_e32 v74, 0xbf4178ce, v80
	v_mul_f32_e32 v80, 0xbf4178ce, v82
	v_add_f32_e32 v69, v69, v75
	v_add_f32_e32 v75, v79, v77
	v_sub_f32_e32 v77, v9, v21
	v_add_f32_e32 v79, v20, v8
	v_sub_f32_e32 v8, v8, v20
	v_add_f32_e32 v73, v73, v76
	v_fma_f32 v76, 0xbf27a4f4, v36, -v74
	v_mul_f32_e32 v20, 0xbf4178ce, v77
	v_fmac_f32_e32 v74, 0xbf27a4f4, v36
	v_fma_f32 v36, 0xbf27a4f4, v37, -v80
	v_add_f32_e32 v9, v21, v9
	v_mul_f32_e32 v21, 0xbf4178ce, v8
	v_add_f32_e32 v76, v76, v78
	v_fmamk_f32 v78, v37, 0xbf27a4f4, v80
	v_fma_f32 v37, 0xbf27a4f4, v79, -v20
	v_add_f32_e32 v36, v36, v45
	v_fmamk_f32 v45, v9, 0xbf27a4f4, v21
	v_fmac_f32_e32 v20, 0xbf27a4f4, v79
	v_fma_f32 v21, 0xbf27a4f4, v9, -v21
	v_add_f32_e32 v37, v37, v70
	v_mul_f32_e32 v70, 0x3f7d64f0, v77
	v_add_f32_e32 v45, v45, v48
	v_mul_f32_e32 v48, 0x3f7d64f0, v8
	v_add_f32_e32 v44, v74, v44
	v_add_f32_e32 v40, v20, v40
	v_fma_f32 v74, 0xbe11bafb, v79, -v70
	v_add_f32_e32 v41, v21, v41
	v_mul_f32_e32 v20, 0xbf0a6770, v77
	v_fmamk_f32 v21, v9, 0xbe11bafb, v48
	v_fmac_f32_e32 v70, 0xbe11bafb, v79
	v_add_f32_e32 v53, v74, v53
	v_fma_f32 v48, 0xbe11bafb, v9, -v48
	v_fma_f32 v74, 0x3f575c64, v79, -v20
	v_add_f32_e32 v61, v21, v61
	v_mul_f32_e32 v21, 0xbf0a6770, v8
	v_add_f32_e32 v67, v70, v67
	v_add_f32_e32 v48, v48, v60
	;; [unrolled: 1-line block ×3, first 2 shown]
	v_mul_f32_e32 v66, 0xbe903f40, v77
	v_fmamk_f32 v70, v9, 0x3f575c64, v21
	v_fma_f32 v21, 0x3f575c64, v9, -v21
	v_add_f32_e32 v49, v78, v49
	v_fmac_f32_e32 v20, 0x3f575c64, v79
	v_fma_f32 v78, 0xbf75a155, v79, -v66
	v_fmac_f32_e32 v66, 0xbf75a155, v79
	v_add_f32_e32 v71, v21, v71
	v_mul_f32_e32 v21, 0x3f68dda4, v77
	v_mul_f32_e32 v74, 0xbe903f40, v8
	v_add_f32_e32 v68, v70, v68
	v_add_f32_e32 v70, v20, v52
	;; [unrolled: 1-line block ×3, first 2 shown]
	v_fma_f32 v52, 0x3ed4b147, v79, -v21
	v_sub_f32_e32 v69, v1, v5
	v_fmamk_f32 v20, v9, 0xbf75a155, v74
	v_mul_f32_e32 v8, 0x3f68dda4, v8
	v_add_f32_e32 v77, v4, v0
	v_add_f32_e32 v76, v52, v76
	v_mul_f32_e32 v52, 0xbe903f40, v69
	v_sub_f32_e32 v0, v0, v4
	v_add_f32_e32 v73, v20, v73
	v_fma_f32 v20, 0xbf75a155, v9, -v74
	v_fmamk_f32 v74, v9, 0x3ed4b147, v8
	v_fmac_f32_e32 v21, 0x3ed4b147, v79
	v_fma_f32 v4, 0x3ed4b147, v9, -v8
	v_fma_f32 v8, 0xbf75a155, v77, -v52
	v_add_f32_e32 v1, v5, v1
	v_mul_f32_e32 v5, 0xbe903f40, v0
	v_add_f32_e32 v75, v20, v75
	v_add_f32_e32 v9, v21, v44
	;; [unrolled: 1-line block ×3, first 2 shown]
	v_mul_f32_e32 v8, 0x3f0a6770, v69
	v_fmamk_f32 v21, v1, 0xbf75a155, v5
	v_mul_f32_e32 v44, 0x3f0a6770, v0
	v_fma_f32 v5, 0xbf75a155, v1, -v5
	v_add_f32_e32 v74, v74, v49
	v_fmac_f32_e32 v52, 0xbf75a155, v77
	v_fma_f32 v49, 0x3f575c64, v77, -v8
	v_add_f32_e32 v21, v21, v45
	v_fmamk_f32 v45, v1, 0x3f575c64, v44
	v_add_f32_e32 v37, v5, v41
	v_mul_f32_e32 v5, 0xbf4178ce, v69
	v_add_f32_e32 v4, v4, v36
	v_add_f32_e32 v36, v52, v40
	;; [unrolled: 1-line block ×3, first 2 shown]
	v_mul_f32_e32 v49, 0xbf4178ce, v0
	v_add_f32_e32 v41, v45, v61
	v_fmac_f32_e32 v8, 0x3f575c64, v77
	v_fma_f32 v45, 0x3f575c64, v1, -v44
	v_fma_f32 v52, 0xbf27a4f4, v77, -v5
	v_fmac_f32_e32 v5, 0xbf27a4f4, v77
	v_fmamk_f32 v53, v1, 0xbf27a4f4, v49
	v_add_f32_e32 v44, v8, v67
	v_add_f32_e32 v45, v45, v48
	;; [unrolled: 1-line block ×4, first 2 shown]
	v_fma_f32 v5, 0xbf27a4f4, v1, -v49
	v_add_f32_e32 v8, v46, v58
	v_add_f32_e32 v60, v47, v59
	;; [unrolled: 1-line block ×3, first 2 shown]
	v_mul_f32_e32 v67, 0x3f68dda4, v69
	v_add_f32_e32 v49, v5, v71
	v_add_f32_e32 v5, v8, v50
	;; [unrolled: 1-line block ×3, first 2 shown]
	v_mul_f32_e32 v68, 0x3f68dda4, v0
	v_fma_f32 v60, 0x3ed4b147, v77, -v67
	v_fmac_f32_e32 v67, 0x3ed4b147, v77
	v_add_f32_e32 v5, v5, v38
	v_add_f32_e32 v8, v8, v39
	v_fmamk_f32 v61, v1, 0x3ed4b147, v68
	v_mul_f32_e32 v70, 0xbf7d64f0, v69
	v_mul_f32_e32 v0, 0xbf7d64f0, v0
	v_add_f32_e32 v5, v5, v10
	v_add_f32_e32 v8, v8, v11
	;; [unrolled: 1-line block ×4, first 2 shown]
	v_fma_f32 v67, 0x3ed4b147, v1, -v68
	v_add_f32_e32 v5, v5, v2
	v_add_f32_e32 v8, v8, v3
	v_fma_f32 v68, 0xbe11bafb, v77, -v70
	v_fmamk_f32 v69, v1, 0xbe11bafb, v0
	v_fmac_f32_e32 v70, 0xbe11bafb, v77
	v_add_f32_e32 v5, v5, v6
	v_add_f32_e32 v8, v8, v7
	v_fma_f32 v0, 0xbe11bafb, v1, -v0
	v_sub_f32_e32 v73, v58, v62
	v_add_f32_e32 v72, v78, v72
	v_add_f32_e32 v5, v5, v22
	;; [unrolled: 1-line block ×8, first 2 shown]
	v_sub_f32_e32 v9, v59, v63
	v_add_f32_e32 v74, v63, v59
	v_mul_f32_e32 v76, 0xbf0a6770, v73
	v_add_f32_e32 v1, v1, v54
	v_add_f32_e32 v5, v5, v55
	;; [unrolled: 1-line block ×4, first 2 shown]
	v_mul_f32_e32 v72, 0xbf0a6770, v9
	v_add_f32_e32 v71, v0, v4
	v_add_f32_e32 v58, v1, v62
	;; [unrolled: 1-line block ×3, first 2 shown]
	v_fmamk_f32 v1, v74, 0x3f575c64, v76
	v_mul_f32_e32 v4, 0xbf68dda4, v9
	v_fma_f32 v5, 0x3f575c64, v74, -v76
	v_mul_f32_e32 v76, 0xbf7d64f0, v9
	v_mul_f32_e32 v79, 0xbf4178ce, v9
	;; [unrolled: 1-line block ×3, first 2 shown]
	v_add_f32_e32 v67, v67, v75
	v_fma_f32 v75, 0x3f575c64, v8, -v72
	v_fmac_f32_e32 v72, 0x3f575c64, v8
	v_mul_f32_e32 v62, 0xbf68dda4, v73
	v_fma_f32 v63, 0x3ed4b147, v8, -v4
	v_fmac_f32_e32 v4, 0x3ed4b147, v8
	v_fma_f32 v77, 0xbe11bafb, v8, -v76
	v_mul_f32_e32 v78, 0xbf7d64f0, v73
	v_fmac_f32_e32 v76, 0xbe11bafb, v8
	v_fma_f32 v81, 0xbf27a4f4, v8, -v79
	v_mul_f32_e32 v82, 0xbf4178ce, v73
	v_mul_f32_e32 v73, 0xbe903f40, v73
	v_fmac_f32_e32 v79, 0xbf27a4f4, v8
	v_fma_f32 v84, 0xbf75a155, v8, -v9
	v_add_f32_e32 v87, v54, v50
	v_sub_f32_e32 v50, v50, v54
	v_mul_f32_e32 v54, 0xbf68dda4, v86
	v_fmac_f32_e32 v9, 0xbf75a155, v8
	v_add_f32_e32 v0, v46, v75
	v_add_f32_e32 v72, v46, v72
	v_fmamk_f32 v75, v74, 0x3ed4b147, v62
	v_add_f32_e32 v63, v46, v63
	v_fma_f32 v62, 0x3ed4b147, v74, -v62
	v_add_f32_e32 v4, v46, v4
	v_add_f32_e32 v77, v46, v77
	v_fmamk_f32 v80, v74, 0xbe11bafb, v78
	v_fma_f32 v78, 0xbe11bafb, v74, -v78
	v_add_f32_e32 v76, v46, v76
	v_add_f32_e32 v81, v46, v81
	v_fmamk_f32 v83, v74, 0xbf27a4f4, v82
	v_fma_f32 v82, 0xbf27a4f4, v74, -v82
	v_fmamk_f32 v85, v74, 0xbf75a155, v73
	v_add_f32_e32 v79, v46, v79
	v_add_f32_e32 v84, v46, v84
	v_fma_f32 v8, 0xbf75a155, v74, -v73
	v_add_f32_e32 v51, v55, v51
	v_mul_f32_e32 v55, 0xbf68dda4, v50
	v_fma_f32 v73, 0x3ed4b147, v87, -v54
	v_add_f32_e32 v9, v46, v9
	v_mul_f32_e32 v46, 0xbf4178ce, v86
	v_add_f32_e32 v1, v47, v1
	v_add_f32_e32 v5, v47, v5
	;; [unrolled: 1-line block ×10, first 2 shown]
	v_fmamk_f32 v47, v51, 0x3ed4b147, v55
	v_add_f32_e32 v0, v73, v0
	v_fma_f32 v55, 0x3ed4b147, v51, -v55
	v_fma_f32 v73, 0xbf27a4f4, v87, -v46
	v_fmac_f32_e32 v54, 0x3ed4b147, v87
	v_add_f32_e32 v1, v47, v1
	v_mul_f32_e32 v47, 0xbf4178ce, v50
	v_add_f32_e32 v5, v55, v5
	v_add_f32_e32 v55, v73, v63
	v_mul_f32_e32 v63, 0x3e903f40, v86
	v_add_f32_e32 v54, v54, v72
	v_fmamk_f32 v72, v51, 0xbf27a4f4, v47
	v_fmac_f32_e32 v46, 0xbf27a4f4, v87
	v_fma_f32 v47, 0xbf27a4f4, v51, -v47
	v_mul_f32_e32 v73, 0x3e903f40, v50
	v_fma_f32 v74, 0xbf75a155, v87, -v63
	v_fmac_f32_e32 v63, 0xbf75a155, v87
	v_add_f32_e32 v72, v72, v75
	v_add_f32_e32 v4, v46, v4
	;; [unrolled: 1-line block ×3, first 2 shown]
	v_fmamk_f32 v47, v51, 0xbf75a155, v73
	v_add_f32_e32 v62, v74, v77
	v_mul_f32_e32 v74, 0x3f7d64f0, v86
	v_fma_f32 v73, 0xbf75a155, v51, -v73
	v_mul_f32_e32 v75, 0x3f7d64f0, v50
	v_add_f32_e32 v63, v63, v76
	v_mul_f32_e32 v76, 0x3f0a6770, v86
	v_add_f32_e32 v47, v47, v80
	v_fma_f32 v77, 0xbe11bafb, v87, -v74
	v_add_f32_e32 v73, v73, v78
	v_fmamk_f32 v78, v51, 0xbe11bafb, v75
	v_fmac_f32_e32 v74, 0xbe11bafb, v87
	v_fma_f32 v75, 0xbe11bafb, v51, -v75
	v_fma_f32 v80, 0x3f575c64, v87, -v76
	v_mul_f32_e32 v50, 0x3f0a6770, v50
	v_add_f32_e32 v77, v77, v81
	v_add_f32_e32 v74, v74, v79
	;; [unrolled: 1-line block ×4, first 2 shown]
	v_sub_f32_e32 v80, v39, v43
	v_sub_f32_e32 v82, v38, v42
	v_fmamk_f32 v81, v51, 0x3f575c64, v50
	v_fmac_f32_e32 v76, 0x3f575c64, v87
	v_add_f32_e32 v38, v42, v38
	v_mul_f32_e32 v42, 0xbf7d64f0, v80
	v_fma_f32 v50, 0x3f575c64, v51, -v50
	v_add_f32_e32 v39, v43, v39
	v_mul_f32_e32 v43, 0xbf7d64f0, v82
	v_add_f32_e32 v51, v81, v85
	v_fma_f32 v81, 0xbe11bafb, v38, -v42
	v_add_f32_e32 v9, v76, v9
	v_add_f32_e32 v8, v50, v8
	v_fmamk_f32 v50, v39, 0xbe11bafb, v43
	v_mul_f32_e32 v76, 0x3e903f40, v80
	v_fma_f32 v43, 0xbe11bafb, v39, -v43
	v_add_f32_e32 v0, v81, v0
	v_fmac_f32_e32 v42, 0xbe11bafb, v38
	v_add_f32_e32 v1, v50, v1
	v_fma_f32 v50, 0xbf75a155, v38, -v76
	v_mul_f32_e32 v81, 0x3e903f40, v82
	v_add_f32_e32 v5, v43, v5
	v_mul_f32_e32 v43, 0x3f68dda4, v80
	v_add_f32_e32 v78, v78, v83
	v_add_f32_e32 v42, v42, v54
	;; [unrolled: 1-line block ×3, first 2 shown]
	v_fmamk_f32 v54, v39, 0xbf75a155, v81
	v_fmac_f32_e32 v76, 0xbf75a155, v38
	v_fma_f32 v55, 0xbf75a155, v39, -v81
	v_fma_f32 v81, 0x3ed4b147, v38, -v43
	v_mul_f32_e32 v83, 0x3f68dda4, v82
	v_add_f32_e32 v54, v54, v72
	v_add_f32_e32 v4, v76, v4
	;; [unrolled: 1-line block ×4, first 2 shown]
	v_fmamk_f32 v62, v39, 0x3ed4b147, v83
	v_mul_f32_e32 v72, 0xbf0a6770, v80
	v_fmac_f32_e32 v43, 0x3ed4b147, v38
	v_fma_f32 v76, 0x3ed4b147, v39, -v83
	v_mul_f32_e32 v81, 0xbf0a6770, v82
	v_add_f32_e32 v47, v62, v47
	v_fma_f32 v62, 0x3f575c64, v38, -v72
	v_add_f32_e32 v43, v43, v63
	v_add_f32_e32 v63, v76, v73
	v_fmamk_f32 v73, v39, 0x3f575c64, v81
	v_mul_f32_e32 v76, 0xbf4178ce, v80
	v_add_f32_e32 v62, v62, v77
	v_fmac_f32_e32 v72, 0x3f575c64, v38
	v_fma_f32 v77, 0x3f575c64, v39, -v81
	v_add_f32_e32 v73, v73, v78
	v_fma_f32 v78, 0xbf27a4f4, v38, -v76
	v_mul_f32_e32 v80, 0xbf4178ce, v82
	v_add_f32_e32 v72, v72, v74
	v_add_f32_e32 v74, v77, v75
	v_sub_f32_e32 v75, v11, v23
	v_add_f32_e32 v77, v78, v79
	v_add_f32_e32 v79, v22, v10
	v_sub_f32_e32 v10, v10, v22
	v_fmac_f32_e32 v76, 0xbf27a4f4, v38
	v_fma_f32 v38, 0xbf27a4f4, v39, -v80
	v_add_f32_e32 v11, v23, v11
	v_mul_f32_e32 v22, 0xbf4178ce, v75
	v_mul_f32_e32 v23, 0xbf4178ce, v10
	v_fmamk_f32 v78, v39, 0xbf27a4f4, v80
	v_add_f32_e32 v8, v38, v8
	v_add_f32_e32 v9, v76, v9
	v_fma_f32 v39, 0xbf27a4f4, v79, -v22
	v_fmamk_f32 v38, v11, 0xbf27a4f4, v23
	v_fmac_f32_e32 v22, 0xbf27a4f4, v79
	v_fma_f32 v23, 0xbf27a4f4, v11, -v23
	v_add_f32_e32 v51, v78, v51
	v_add_f32_e32 v0, v39, v0
	;; [unrolled: 1-line block ×3, first 2 shown]
	v_mul_f32_e32 v38, 0x3f7d64f0, v10
	v_mul_f32_e32 v39, 0x3f7d64f0, v75
	v_add_f32_e32 v22, v22, v42
	v_add_f32_e32 v5, v23, v5
	v_mul_f32_e32 v23, 0xbf0a6770, v75
	v_fmamk_f32 v42, v11, 0xbe11bafb, v38
	v_fma_f32 v76, 0xbe11bafb, v79, -v39
	v_fmac_f32_e32 v39, 0xbe11bafb, v79
	v_fma_f32 v38, 0xbe11bafb, v11, -v38
	v_sub_f32_e32 v83, v32, v26
	v_add_f32_e32 v54, v42, v54
	v_mul_f32_e32 v42, 0xbf0a6770, v10
	v_add_f32_e32 v4, v39, v4
	v_add_f32_e32 v78, v38, v46
	v_mul_f32_e32 v46, 0xbe903f40, v10
	v_add_f32_e32 v50, v76, v50
	v_fmamk_f32 v39, v11, 0x3f575c64, v42
	v_fma_f32 v42, 0x3f575c64, v11, -v42
	v_fma_f32 v76, 0x3f575c64, v79, -v23
	v_mul_f32_e32 v38, 0xbe903f40, v75
	v_fmac_f32_e32 v23, 0x3f575c64, v79
	v_add_f32_e32 v80, v39, v47
	v_fmamk_f32 v39, v11, 0xbf75a155, v46
	v_add_f32_e32 v63, v42, v63
	v_mul_f32_e32 v42, 0x3f68dda4, v75
	v_add_f32_e32 v55, v76, v55
	v_fma_f32 v76, 0xbf75a155, v79, -v38
	v_add_f32_e32 v23, v23, v43
	v_add_f32_e32 v73, v39, v73
	v_fma_f32 v39, 0xbf75a155, v11, -v46
	v_fma_f32 v43, 0x3ed4b147, v79, -v42
	v_sub_f32_e32 v75, v3, v7
	v_add_f32_e32 v62, v76, v62
	v_fmac_f32_e32 v38, 0xbf75a155, v79
	v_mul_f32_e32 v10, 0x3f68dda4, v10
	v_add_f32_e32 v74, v39, v74
	v_add_f32_e32 v76, v43, v77
	;; [unrolled: 1-line block ×3, first 2 shown]
	v_mul_f32_e32 v39, 0xbe903f40, v75
	v_sub_f32_e32 v2, v2, v6
	v_add_f32_e32 v72, v38, v72
	v_fmamk_f32 v38, v11, 0x3ed4b147, v10
	v_fmac_f32_e32 v42, 0x3ed4b147, v79
	v_fma_f32 v6, 0x3ed4b147, v11, -v10
	v_fma_f32 v10, 0xbf75a155, v77, -v39
	v_add_f32_e32 v3, v7, v3
	v_mul_f32_e32 v7, 0xbe903f40, v2
	v_add_f32_e32 v9, v42, v9
	v_add_f32_e32 v6, v6, v8
	;; [unrolled: 1-line block ×3, first 2 shown]
	v_mul_f32_e32 v10, 0x3f0a6770, v2
	v_fmamk_f32 v8, v3, 0xbf75a155, v7
	v_mul_f32_e32 v0, 0x3f0a6770, v75
	v_add_f32_e32 v81, v38, v51
	v_fmac_f32_e32 v39, 0xbf75a155, v77
	v_fma_f32 v7, 0xbf75a155, v3, -v7
	v_add_f32_e32 v43, v8, v1
	v_fmamk_f32 v1, v3, 0x3f575c64, v10
	v_fma_f32 v11, 0x3f575c64, v77, -v0
	v_fmac_f32_e32 v0, 0x3f575c64, v77
	v_add_f32_e32 v38, v39, v22
	v_add_f32_e32 v39, v7, v5
	;; [unrolled: 1-line block ×3, first 2 shown]
	v_mul_f32_e32 v1, 0xbf4178ce, v2
	v_mul_f32_e32 v5, 0xbf4178ce, v75
	v_add_f32_e32 v46, v0, v4
	v_fma_f32 v7, 0x3f575c64, v3, -v10
	v_mul_f32_e32 v0, 0x3f68dda4, v75
	v_fmamk_f32 v4, v3, 0xbf27a4f4, v1
	v_fma_f32 v8, 0xbf27a4f4, v77, -v5
	v_fmac_f32_e32 v5, 0xbf27a4f4, v77
	v_fma_f32 v1, 0xbf27a4f4, v3, -v1
	v_add_f32_e32 v47, v7, v78
	v_add_f32_e32 v99, v4, v80
	v_mul_f32_e32 v4, 0x3f68dda4, v2
	v_fma_f32 v7, 0x3ed4b147, v77, -v0
	v_add_f32_e32 v100, v5, v23
	v_add_f32_e32 v101, v1, v63
	v_mul_f32_e32 v1, 0xbf7d64f0, v75
	v_fmamk_f32 v5, v3, 0x3ed4b147, v4
	v_fma_f32 v4, 0x3ed4b147, v3, -v4
	v_add_f32_e32 v102, v7, v62
	v_fmac_f32_e32 v0, 0x3ed4b147, v77
	v_fma_f32 v7, 0xbe11bafb, v77, -v1
	v_add_f32_e32 v98, v8, v55
	v_add_f32_e32 v105, v4, v74
	v_sub_f32_e32 v4, v14, v64
	v_mul_f32_e32 v2, 0xbf7d64f0, v2
	v_add_f32_e32 v103, v5, v73
	v_add_f32_e32 v104, v0, v72
	;; [unrolled: 1-line block ×3, first 2 shown]
	v_sub_f32_e32 v0, v15, v65
	v_fmac_f32_e32 v1, 0xbe11bafb, v77
	v_add_f32_e32 v75, v65, v15
	v_mul_f32_e32 v55, 0xbf0a6770, v4
	v_mul_f32_e32 v73, 0xbf68dda4, v4
	;; [unrolled: 1-line block ×5, first 2 shown]
	v_fmamk_f32 v5, v3, 0xbe11bafb, v2
	v_add_f32_e32 v74, v64, v14
	v_mul_f32_e32 v54, 0xbf0a6770, v0
	v_fma_f32 v2, 0xbe11bafb, v3, -v2
	v_add_f32_e32 v108, v1, v9
	v_mul_f32_e32 v62, 0xbf68dda4, v0
	v_mul_f32_e32 v3, 0xbf7d64f0, v0
	;; [unrolled: 1-line block ×4, first 2 shown]
	v_fmamk_f32 v72, v75, 0xbf75a155, v4
	v_add_f32_e32 v107, v5, v81
	v_add_f32_e32 v109, v2, v6
	v_fma_f32 v2, 0x3f575c64, v75, -v55
	v_fma_f32 v63, 0xbf75a155, v74, -v0
	v_sub_f32_e32 v78, v33, v27
	v_add_f32_e32 v82, v72, v13
	v_add_f32_e32 v81, v27, v33
	v_mul_f32_e32 v72, 0xbf68dda4, v83
	v_fmamk_f32 v1, v74, 0x3f575c64, v54
	v_fma_f32 v6, 0x3ed4b147, v75, -v73
	v_add_f32_e32 v2, v2, v13
	v_add_f32_e32 v77, v63, v12
	v_add_f32_e32 v80, v26, v32
	v_mul_f32_e32 v63, 0xbf68dda4, v78
	v_mul_f32_e32 v79, 0xbf4178ce, v83
	v_fma_f32 v85, 0x3ed4b147, v81, -v72
	v_add_f32_e32 v1, v1, v12
	v_fmamk_f32 v5, v74, 0x3ed4b147, v62
	v_add_f32_e32 v6, v6, v13
	v_fmamk_f32 v10, v75, 0xbe11bafb, v7
	v_fmamk_f32 v84, v80, 0x3ed4b147, v63
	v_mul_f32_e32 v76, 0xbf4178ce, v78
	v_fma_f32 v87, 0xbf27a4f4, v81, -v79
	v_add_f32_e32 v2, v85, v2
	v_mul_f32_e32 v85, 0x3e903f40, v83
	v_fma_f32 v8, 0xbe11bafb, v74, -v3
	v_add_f32_e32 v5, v5, v12
	v_fmac_f32_e32 v3, 0xbe11bafb, v74
	v_fma_f32 v7, 0xbe11bafb, v75, -v7
	v_add_f32_e32 v10, v10, v13
	v_add_f32_e32 v1, v84, v1
	v_mul_f32_e32 v84, 0x3e903f40, v78
	v_fmamk_f32 v86, v80, 0xbf27a4f4, v76
	v_add_f32_e32 v6, v87, v6
	v_fmamk_f32 v87, v81, 0xbf75a155, v85
	v_add_f32_e32 v50, v11, v50
	v_add_f32_e32 v8, v8, v12
	v_fma_f32 v11, 0xbf27a4f4, v74, -v9
	v_add_f32_e32 v3, v3, v12
	v_add_f32_e32 v7, v7, v13
	v_fmamk_f32 v23, v75, 0xbf27a4f4, v22
	v_fmac_f32_e32 v9, 0xbf27a4f4, v74
	v_fmac_f32_e32 v0, 0xbf75a155, v74
	v_fma_f32 v88, 0xbf75a155, v80, -v84
	v_add_f32_e32 v5, v86, v5
	v_mul_f32_e32 v86, 0x3f7d64f0, v78
	v_fmac_f32_e32 v84, 0xbf75a155, v80
	v_fma_f32 v85, 0xbf75a155, v81, -v85
	v_add_f32_e32 v10, v87, v10
	v_mul_f32_e32 v87, 0x3f7d64f0, v83
	v_mul_f32_e32 v78, 0x3f0a6770, v78
	v_add_f32_e32 v11, v11, v12
	v_fma_f32 v22, 0xbf27a4f4, v75, -v22
	v_add_f32_e32 v23, v23, v13
	v_add_f32_e32 v9, v9, v12
	;; [unrolled: 1-line block ×4, first 2 shown]
	v_fma_f32 v88, 0xbe11bafb, v80, -v86
	v_add_f32_e32 v3, v84, v3
	v_add_f32_e32 v7, v85, v7
	v_fmamk_f32 v84, v81, 0xbe11bafb, v87
	v_mul_f32_e32 v83, 0x3f0a6770, v83
	v_fmac_f32_e32 v86, 0xbe11bafb, v80
	v_fma_f32 v85, 0xbe11bafb, v81, -v87
	v_fma_f32 v87, 0x3f575c64, v80, -v78
	v_fmac_f32_e32 v78, 0x3f575c64, v80
	v_sub_f32_e32 v90, v34, v24
	v_add_f32_e32 v22, v22, v13
	v_add_f32_e32 v11, v88, v11
	;; [unrolled: 1-line block ×3, first 2 shown]
	v_fmamk_f32 v84, v81, 0x3f575c64, v83
	v_add_f32_e32 v9, v86, v9
	v_sub_f32_e32 v88, v35, v25
	v_add_f32_e32 v0, v78, v0
	v_add_f32_e32 v86, v25, v35
	v_mul_f32_e32 v78, 0xbf7d64f0, v90
	v_fma_f32 v4, 0xbf75a155, v75, -v4
	v_add_f32_e32 v22, v85, v22
	v_add_f32_e32 v85, v87, v77
	;; [unrolled: 1-line block ×4, first 2 shown]
	v_mul_f32_e32 v77, 0xbf7d64f0, v88
	v_mul_f32_e32 v84, 0x3e903f40, v90
	v_fma_f32 v91, 0xbe11bafb, v86, -v78
	v_add_f32_e32 v4, v4, v13
	v_fma_f32 v82, 0x3f575c64, v81, -v83
	v_fmamk_f32 v83, v87, 0xbe11bafb, v77
	v_fma_f32 v93, 0xbf75a155, v86, -v84
	v_add_f32_e32 v2, v91, v2
	v_mul_f32_e32 v91, 0x3f68dda4, v90
	v_add_f32_e32 v4, v82, v4
	v_mul_f32_e32 v82, 0x3e903f40, v88
	;; [unrolled: 2-line block ×3, first 2 shown]
	v_add_f32_e32 v6, v93, v6
	v_fmamk_f32 v93, v86, 0x3ed4b147, v91
	v_fmamk_f32 v92, v87, 0xbf75a155, v82
	v_fma_f32 v91, 0x3ed4b147, v86, -v91
	v_fma_f32 v94, 0x3ed4b147, v87, -v83
	v_fmac_f32_e32 v83, 0x3ed4b147, v87
	v_add_f32_e32 v10, v93, v10
	v_mul_f32_e32 v93, 0xbf0a6770, v90
	v_add_f32_e32 v5, v92, v5
	v_mul_f32_e32 v92, 0xbf0a6770, v88
	;; [unrolled: 2-line block ×3, first 2 shown]
	v_fmamk_f32 v83, v86, 0x3f575c64, v93
	v_mul_f32_e32 v90, 0xbf4178ce, v90
	v_add_f32_e32 v8, v94, v8
	v_fma_f32 v94, 0x3f575c64, v87, -v92
	v_add_f32_e32 v7, v91, v7
	v_fma_f32 v91, 0x3f575c64, v86, -v93
	v_fma_f32 v93, 0xbf27a4f4, v87, -v88
	v_add_f32_e32 v23, v83, v23
	v_fmamk_f32 v83, v86, 0xbf27a4f4, v90
	v_sub_f32_e32 v95, v29, v19
	v_sub_f32_e32 v96, v28, v18
	v_add_f32_e32 v11, v94, v11
	v_fmac_f32_e32 v92, 0x3f575c64, v87
	v_add_f32_e32 v22, v91, v22
	v_add_f32_e32 v91, v93, v85
	v_fmac_f32_e32 v88, 0xbf27a4f4, v87
	v_add_f32_e32 v89, v83, v89
	v_add_f32_e32 v93, v18, v28
	v_mul_f32_e32 v83, 0xbf4178ce, v95
	v_fma_f32 v90, 0xbf27a4f4, v86, -v90
	v_add_f32_e32 v94, v19, v29
	v_mul_f32_e32 v85, 0xbf4178ce, v96
	v_add_f32_e32 v9, v92, v9
	v_add_f32_e32 v0, v88, v0
	v_fmamk_f32 v97, v93, 0xbf27a4f4, v83
	v_mul_f32_e32 v88, 0x3f7d64f0, v95
	v_add_f32_e32 v4, v90, v4
	v_mul_f32_e32 v92, 0x3f7d64f0, v96
	v_fma_f32 v90, 0xbf27a4f4, v94, -v85
	v_add_f32_e32 v1, v97, v1
	v_fmamk_f32 v97, v93, 0xbe11bafb, v88
	v_mul_f32_e32 v110, 0xbf0a6770, v95
	v_fma_f32 v111, 0xbe11bafb, v94, -v92
	v_add_f32_e32 v2, v90, v2
	v_mul_f32_e32 v90, 0xbf0a6770, v96
	v_add_f32_e32 v5, v97, v5
	v_fma_f32 v97, 0x3f575c64, v93, -v110
	v_add_f32_e32 v6, v111, v6
	v_mul_f32_e32 v111, 0xbe903f40, v95
	v_fmamk_f32 v112, v94, 0x3f575c64, v90
	v_fmac_f32_e32 v110, 0x3f575c64, v93
	v_fma_f32 v90, 0x3f575c64, v94, -v90
	v_add_f32_e32 v8, v97, v8
	v_fma_f32 v97, 0xbf75a155, v93, -v111
	v_fmac_f32_e32 v111, 0xbf75a155, v93
	v_add_f32_e32 v110, v110, v3
	v_mul_f32_e32 v3, 0xbe903f40, v96
	v_add_f32_e32 v7, v90, v7
	v_mul_f32_e32 v90, 0x3f68dda4, v95
	v_mul_f32_e32 v95, 0x3f68dda4, v96
	v_add_f32_e32 v10, v112, v10
	v_fmamk_f32 v96, v94, 0xbf75a155, v3
	v_add_f32_e32 v111, v111, v9
	v_sub_f32_e32 v9, v31, v17
	v_fmamk_f32 v112, v94, 0x3ed4b147, v95
	v_add_f32_e32 v11, v97, v11
	v_fma_f32 v3, 0xbf75a155, v94, -v3
	v_fma_f32 v97, 0x3ed4b147, v93, -v90
	v_add_f32_e32 v113, v96, v23
	v_add_f32_e32 v112, v112, v89
	v_fmac_f32_e32 v90, 0x3ed4b147, v93
	v_sub_f32_e32 v117, v30, v16
	v_add_f32_e32 v96, v16, v30
	v_mul_f32_e32 v89, 0xbe903f40, v9
	v_add_f32_e32 v116, v3, v22
	v_add_f32_e32 v118, v97, v91
	v_fma_f32 v3, 0x3ed4b147, v94, -v95
	v_add_f32_e32 v119, v90, v0
	v_add_f32_e32 v97, v17, v31
	v_mul_f32_e32 v90, 0xbe903f40, v117
	v_fmamk_f32 v0, v96, 0xbf75a155, v89
	v_mul_f32_e32 v91, 0x3f0a6770, v9
	v_add_f32_e32 v120, v3, v4
	v_mul_f32_e32 v95, 0x3f0a6770, v117
	v_fma_f32 v3, 0xbf75a155, v97, -v90
	v_mul_f32_e32 v4, 0xbf4178ce, v9
	v_add_f32_e32 v233, v0, v1
	v_fmamk_f32 v0, v96, 0x3f575c64, v91
	v_mul_f32_e32 v23, 0xbf4178ce, v117
	v_fma_f32 v1, 0x3f575c64, v97, -v95
	v_add_f32_e32 v234, v3, v2
	v_fma_f32 v22, 0xbf27a4f4, v96, -v4
	v_add_f32_e32 v2, v0, v5
	v_fmamk_f32 v0, v97, 0xbf27a4f4, v23
	v_fmac_f32_e32 v4, 0xbf27a4f4, v96
	v_mul_f32_e32 v121, 0x3f68dda4, v117
	v_add_f32_e32 v3, v1, v6
	v_mul_f32_e32 v5, 0x3f68dda4, v9
	v_fma_f32 v1, 0xbf27a4f4, v97, -v23
	v_add_f32_e32 v23, v0, v10
	v_add_f32_e32 v0, v4, v110
	v_fmamk_f32 v4, v97, 0x3ed4b147, v121
	v_mul_f32_e32 v110, 0xbf7d64f0, v9
	v_fma_f32 v6, 0x3ed4b147, v96, -v5
	v_fmac_f32_e32 v5, 0x3ed4b147, v96
	v_mul_f32_e32 v10, 0xbf7d64f0, v117
	v_add_f32_e32 v9, v4, v113
	v_fma_f32 v4, 0xbe11bafb, v96, -v110
	v_fmac_f32_e32 v110, 0xbe11bafb, v96
	v_mul_lo_u16 v113, v132, 11
	v_mov_b32_e32 v117, 3
	v_add_co_u32 v114, null, 0x6e, v132
	v_add_f32_e32 v22, v22, v8
	v_add_f32_e32 v1, v1, v7
	;; [unrolled: 1-line block ×3, first 2 shown]
	v_fma_f32 v7, 0x3ed4b147, v97, -v121
	v_add_f32_e32 v6, v5, v111
	v_fmamk_f32 v5, v97, 0xbe11bafb, v10
	v_fma_f32 v111, 0xbe11bafb, v97, -v10
	v_add_f32_e32 v10, v4, v118
	v_add_f32_e32 v4, v110, v119
	v_lshlrev_b32_sdwa v241, v117, v113 dst_sel:DWORD dst_unused:UNUSED_PAD src0_sel:DWORD src1_sel:WORD_0
	v_mul_u32_u24_e32 v110, 11, v115
	v_add_f32_e32 v7, v7, v116
	v_add_f32_e32 v11, v5, v112
	;; [unrolled: 1-line block ×3, first 2 shown]
	s_barrier
	buffer_gl0_inv
	ds_write2_b64 v241, v[56:57], v[20:21] offset1:1
	ds_write2_b64 v241, v[40:41], v[52:53] offset0:2 offset1:3
	v_lshlrev_b32_e32 v242, 3, v110
	v_mul_u32_u24_e32 v20, 11, v114
	ds_write2_b64 v241, v[60:61], v[68:69] offset0:4 offset1:5
	ds_write2_b64 v241, v[70:71], v[66:67] offset0:6 offset1:7
	;; [unrolled: 1-line block ×3, first 2 shown]
	ds_write_b64 v241, v[36:37] offset:80
	ds_write2_b64 v242, v[58:59], v[42:43] offset1:1
	ds_write2_b64 v242, v[50:51], v[98:99] offset0:2 offset1:3
	buffer_store_dword v20, off, s[20:23], 0 offset:144 ; 4-byte Folded Spill
	ds_write2_b64 v242, v[102:103], v[106:107] offset0:4 offset1:5
	ds_write2_b64 v242, v[108:109], v[104:105] offset0:6 offset1:7
	;; [unrolled: 1-line block ×3, first 2 shown]
	ds_write_b64 v242, v[38:39] offset:80
	s_and_saveexec_b32 s0, vcc_lo
	s_cbranch_execz .LBB0_7
; %bb.6:
	v_add_f32_e32 v15, v15, v13
	v_add_f32_e32 v14, v14, v12
	v_mul_f32_e32 v21, 0x3f575c64, v75
	v_mul_f32_e32 v37, 0x3ed4b147, v75
	;; [unrolled: 1-line block ×3, first 2 shown]
	v_add_f32_e32 v15, v33, v15
	v_add_f32_e32 v32, v32, v14
	v_mul_f32_e32 v36, 0x3ed4b147, v74
	v_add_f32_e32 v37, v73, v37
	v_add_f32_e32 v21, v55, v21
	;; [unrolled: 1-line block ×4, first 2 shown]
	v_mul_f32_e32 v38, 0x3ed4b147, v80
	v_add_f32_e32 v37, v37, v13
	v_sub_f32_e32 v36, v36, v62
	v_sub_f32_e32 v20, v20, v54
	v_add_f32_e32 v13, v21, v13
	v_add_f32_e32 v15, v29, v15
	;; [unrolled: 1-line block ×3, first 2 shown]
	v_mul_f32_e32 v39, 0x3ed4b147, v81
	v_mul_f32_e32 v42, 0xbe11bafb, v87
	v_add_f32_e32 v36, v36, v12
	v_add_f32_e32 v12, v20, v12
	v_sub_f32_e32 v20, v38, v63
	v_add_f32_e32 v15, v31, v15
	v_add_f32_e32 v21, v30, v21
	v_mul_f32_e32 v40, 0xbf27a4f4, v80
	v_mul_f32_e32 v41, 0xbf27a4f4, v81
	;; [unrolled: 1-line block ×4, first 2 shown]
	v_add_f32_e32 v28, v72, v39
	v_add_f32_e32 v12, v20, v12
	;; [unrolled: 1-line block ×4, first 2 shown]
	v_sub_f32_e32 v17, v42, v77
	v_mul_f32_e32 v44, 0xbf75a155, v87
	v_mul_f32_e32 v45, 0xbf75a155, v86
	v_add_f32_e32 v41, v79, v41
	v_sub_f32_e32 v40, v40, v76
	v_mul_f32_e32 v47, 0xbf27a4f4, v94
	v_mul_f32_e32 v50, 0xbf75a155, v96
	v_add_f32_e32 v13, v28, v13
	v_add_f32_e32 v28, v78, v43
	;; [unrolled: 1-line block ×5, first 2 shown]
	v_sub_f32_e32 v17, v46, v83
	v_mul_f32_e32 v48, 0xbe11bafb, v93
	v_mul_f32_e32 v49, 0xbe11bafb, v94
	v_add_f32_e32 v37, v41, v37
	v_add_f32_e32 v41, v84, v45
	;; [unrolled: 1-line block ×3, first 2 shown]
	v_sub_f32_e32 v40, v44, v82
	v_mul_f32_e32 v51, 0xbf75a155, v97
	v_add_f32_e32 v13, v28, v13
	v_add_f32_e32 v20, v85, v47
	;; [unrolled: 1-line block ×5, first 2 shown]
	v_sub_f32_e32 v17, v50, v89
	v_mul_f32_e32 v45, 0x3f575c64, v96
	v_mul_f32_e32 v52, 0x3f575c64, v97
	v_add_f32_e32 v37, v41, v37
	v_add_f32_e32 v41, v92, v49
	;; [unrolled: 1-line block ×3, first 2 shown]
	v_sub_f32_e32 v33, v48, v88
	v_add_f32_e32 v13, v20, v13
	v_add_f32_e32 v18, v90, v51
	;; [unrolled: 1-line block ×5, first 2 shown]
	v_mul_u32_u24_e32 v12, 11, v114
	v_add_f32_e32 v37, v41, v37
	v_add_f32_e32 v41, v95, v52
	;; [unrolled: 1-line block ×3, first 2 shown]
	v_sub_f32_e32 v21, v45, v91
	v_add_f32_e32 v16, v18, v13
	v_add_f32_e32 v18, v65, v19
	;; [unrolled: 1-line block ×3, first 2 shown]
	v_lshlrev_b32_e32 v12, 3, v12
	v_add_f32_e32 v14, v41, v37
	v_add_f32_e32 v13, v21, v33
	ds_write2_b64 v12, v[17:18], v[15:16] offset1:1
	ds_write2_b64 v12, v[13:14], v[22:23] offset0:2 offset1:3
	ds_write2_b64 v12, v[8:9], v[10:11] offset0:4 offset1:5
	;; [unrolled: 1-line block ×4, first 2 shown]
	ds_write_b64 v12, v[233:234] offset:80
.LBB0_7:
	s_or_b32 exec_lo, exec_lo, s0
	v_and_b32_e32 v12, 0xff, v132
	v_and_b32_e32 v13, 0xff, v115
	s_waitcnt lgkmcnt(0)
	s_waitcnt_vscnt null, 0x0
	s_barrier
	buffer_gl0_inv
	v_mul_lo_u16 v12, 0x75, v12
	v_mul_lo_u16 v13, 0x75, v13
	v_and_b32_e32 v64, 0xff, v114
	v_add_co_u32 v116, null, 0xa5, v132
	v_lshrrev_b16 v12, 8, v12
	v_lshrrev_b16 v13, 8, v13
	v_mul_lo_u16 v32, 0x75, v64
	v_and_b32_e32 v65, 0xff, v116
	v_add_nc_u32_e32 v146, 0x1000, v235
	v_sub_nc_u16 v14, v132, v12
	v_sub_nc_u16 v15, v115, v13
	v_lshrrev_b16 v32, 8, v32
	v_mul_lo_u16 v33, 0x75, v65
	v_add_nc_u32_e32 v162, 0x2000, v235
	v_lshrrev_b16 v14, 1, v14
	v_lshrrev_b16 v15, 1, v15
	v_sub_nc_u16 v34, v114, v32
	v_lshrrev_b16 v33, 8, v33
	v_add_co_u32 v124, null, 0xdc, v132
	v_and_b32_e32 v14, 0x7f, v14
	v_and_b32_e32 v15, 0x7f, v15
	v_lshrrev_b16 v34, 1, v34
	v_sub_nc_u16 v35, v116, v33
	v_mov_b32_e32 v36, 0xba2f
	v_add_nc_u16 v12, v14, v12
	v_add_nc_u16 v13, v15, v13
	v_and_b32_e32 v34, 0x7f, v34
	v_lshrrev_b16 v35, 1, v35
	v_add_nc_u32_e32 v142, 0x400, v235
	v_lshrrev_b16 v40, 3, v12
	v_lshrrev_b16 v20, 3, v13
	v_add_nc_u16 v32, v34, v32
	v_and_b32_e32 v34, 0x7f, v35
	v_add_nc_u32_e32 v147, 0x1800, v235
	v_mul_lo_u16 v12, v40, 11
	v_mul_lo_u16 v13, v20, 11
	v_mul_u32_u24_sdwa v36, v124, v36 dst_sel:DWORD dst_unused:UNUSED_PAD src0_sel:WORD_0 src1_sel:DWORD
	v_lshrrev_b16 v105, 3, v32
	v_add_nc_u16 v37, v34, v33
	v_sub_nc_u16 v12, v132, v12
	v_sub_nc_u16 v13, v115, v13
	v_lshrrev_b32_e32 v66, 19, v36
	v_mov_b32_e32 v68, 55
	v_lshrrev_b16 v106, 3, v37
	v_and_b32_e32 v41, 0xff, v12
	v_and_b32_e32 v21, 0xff, v13
	v_mul_lo_u16 v51, v66, 11
	v_mul_u32_u24_sdwa v40, v40, v68 dst_sel:DWORD dst_unused:UNUSED_PAD src0_sel:WORD_0 src1_sel:DWORD
	v_mul_lo_u16 v50, v105, 11
	v_lshlrev_b32_e32 v12, 5, v41
	v_lshlrev_b32_e32 v13, 5, v21
	v_sub_nc_u16 v67, v124, v51
	v_add_lshl_u32 v133, v40, v41, 3
	s_clause 0x3
	global_load_dwordx4 v[28:31], v12, s[2:3]
	global_load_dwordx4 v[16:19], v13, s[2:3]
	global_load_dwordx4 v[24:27], v12, s[2:3] offset:16
	global_load_dwordx4 v[12:15], v13, s[2:3] offset:16
	ds_read2_b64 v[42:45], v146 offset0:38 offset1:93
	ds_read2_b64 v[46:49], v162 offset0:76 offset1:131
	;; [unrolled: 1-line block ×4, first 2 shown]
	ds_read2_b64 v[69:72], v235 offset1:55
	v_sub_nc_u16 v50, v114, v50
	v_mul_lo_u16 v52, v106, 11
	ds_read_b64 v[103:104], v235 offset:10560
	v_add_nc_u32_e32 v143, 0x800, v235
	v_add_nc_u32_e32 v163, 0x1c00, v235
	v_and_b32_e32 v107, 0xff, v50
	v_sub_nc_u16 v50, v116, v52
	v_mul_u32_u24_sdwa v20, v20, v68 dst_sel:DWORD dst_unused:UNUSED_PAD src0_sel:WORD_0 src1_sel:DWORD
	v_mad_u16 v66, v66, 55, v67
	v_mul_lo_u16 v64, 0x95, v64
	v_mul_lo_u16 v65, 0x95, v65
	v_and_b32_e32 v131, 0xff, v50
	v_lshlrev_b32_sdwa v66, v117, v66 dst_sel:DWORD dst_unused:UNUSED_PAD src0_sel:DWORD src1_sel:WORD_0
	v_lshrrev_b16 v64, 13, v64
	v_lshrrev_b16 v65, 13, v65
	v_mul_lo_u16 v64, v64, 55
	v_mul_lo_u16 v65, v65, 55
	s_waitcnt vmcnt(3) lgkmcnt(3)
	v_mul_f32_e32 v53, v35, v29
	v_mul_f32_e32 v113, v34, v29
	;; [unrolled: 1-line block ×4, first 2 shown]
	s_waitcnt vmcnt(1)
	v_mul_f32_e32 v51, v47, v27
	s_waitcnt lgkmcnt(2)
	v_mul_f32_e32 v54, v39, v25
	v_mul_f32_e32 v112, v38, v25
	v_fma_f32 v122, v34, v28, -v53
	v_fmac_f32_e32 v113, v35, v28
	v_mul_f32_e32 v110, v46, v27
	v_fma_f32 v118, v42, v30, -v40
	v_fmac_f32_e32 v108, v43, v30
	v_fma_f32 v120, v46, v26, -v51
	v_fma_f32 v123, v38, v24, -v54
	v_fmac_f32_e32 v112, v39, v24
	s_waitcnt lgkmcnt(1)
	v_add_f32_e32 v39, v69, v122
	v_add_f32_e32 v40, v70, v113
	v_mul_f32_e32 v41, v45, v19
	v_fmac_f32_e32 v110, v47, v26
	v_sub_f32_e32 v34, v122, v118
	v_sub_f32_e32 v35, v120, v123
	v_add_f32_e32 v38, v118, v123
	v_add_f32_e32 v39, v39, v118
	v_add_f32_e32 v40, v40, v108
	v_fma_f32 v119, v44, v18, -v41
	v_add_f32_e32 v41, v108, v112
	v_sub_f32_e32 v42, v113, v108
	v_sub_f32_e32 v43, v110, v112
	v_add_f32_e32 v126, v34, v35
	v_fma_f32 v34, -0.5, v38, v69
	v_add_f32_e32 v38, v39, v123
	v_add_f32_e32 v39, v40, v112
	v_lshlrev_b16 v40, 2, v67
	v_mul_f32_e32 v109, v44, v19
	s_waitcnt vmcnt(0)
	v_mul_f32_e32 v52, v49, v15
	v_mul_f32_e32 v111, v48, v15
	v_fma_f32 v35, -0.5, v41, v70
	v_lshlrev_b32_e32 v41, 5, v107
	v_add_f32_e32 v128, v42, v43
	v_lshlrev_b32_e32 v42, 5, v131
	v_lshlrev_b32_sdwa v40, v117, v40 dst_sel:DWORD dst_unused:UNUSED_PAD src0_sel:DWORD src1_sel:WORD_0
	v_fmac_f32_e32 v109, v45, v18
	v_fma_f32 v121, v48, v14, -v52
	v_fmac_f32_e32 v111, v49, v14
	s_clause 0x5
	global_load_dwordx4 v[60:63], v41, s[2:3]
	global_load_dwordx4 v[56:59], v41, s[2:3] offset:16
	global_load_dwordx4 v[52:55], v42, s[2:3]
	global_load_dwordx4 v[48:51], v42, s[2:3] offset:16
	;; [unrolled: 2-line block ×3, first 2 shown]
	v_sub_f32_e32 v125, v113, v110
	v_sub_f32_e32 v127, v122, v120
	v_sub_f32_e32 v129, v108, v112
	v_sub_f32_e32 v130, v118, v123
	v_add_f32_e32 v38, v38, v120
	v_fmamk_f32 v101, v125, 0x3f737871, v34
	v_fmamk_f32 v102, v127, 0xbf737871, v35
	v_add_f32_e32 v39, v39, v110
	ds_read2_b64 v[73:76], v235 offset0:110 offset1:165
	ds_read2_b64 v[77:80], v143 offset0:184 offset1:239
	;; [unrolled: 1-line block ×7, first 2 shown]
	s_waitcnt vmcnt(0) lgkmcnt(0)
	v_fmac_f32_e32 v101, 0x3f167918, v129
	v_fmac_f32_e32 v102, 0xbf167918, v130
	s_barrier
	buffer_gl0_inv
	v_fmac_f32_e32 v34, 0xbf737871, v125
	v_fmac_f32_e32 v101, 0x3e9e377a, v126
	;; [unrolled: 1-line block ×4, first 2 shown]
	buffer_store_dword v133, off, s[20:23], 0 offset:108 ; 4-byte Folded Spill
	v_fmac_f32_e32 v34, 0xbf167918, v129
	ds_write2_b64 v133, v[38:39], v[101:102] offset1:11
	v_sub_f32_e32 v38, v118, v122
	v_sub_f32_e32 v39, v123, v120
	v_add_f32_e32 v101, v122, v120
	v_sub_f32_e32 v102, v108, v113
	v_add_f32_e32 v108, v113, v110
	;; [unrolled: 2-line block ×3, first 2 shown]
	v_fma_f32 v38, -0.5, v101, v69
	v_fmac_f32_e32 v35, 0x3f167918, v130
	v_fma_f32 v39, -0.5, v108, v70
	v_add_f32_e32 v101, v102, v110
	v_add_lshl_u32 v110, v20, v21, 3
	v_fmamk_f32 v69, v129, 0xbf737871, v38
	v_fmac_f32_e32 v38, 0x3f737871, v129
	v_fmamk_f32 v70, v130, 0x3f737871, v39
	v_fmac_f32_e32 v39, 0xbf737871, v130
	v_mul_f32_e32 v20, v90, v13
	v_fmac_f32_e32 v69, 0x3f167918, v125
	v_fmac_f32_e32 v38, 0xbf167918, v125
	;; [unrolled: 1-line block ×10, first 2 shown]
	v_lshlrev_b32_e32 v118, 5, v132
	buffer_store_dword v110, off, s[20:23], 0 offset:112 ; 4-byte Folded Spill
	ds_write2_b64 v133, v[69:70], v[38:39] offset0:22 offset1:33
	v_fma_f32 v38, v89, v12, -v20
	v_mul_f32_e32 v20, v86, v17
	v_mul_f32_e32 v70, v89, v13
	ds_write_b64 v133, v[34:35] offset:352
	v_sub_f32_e32 v34, v38, v121
	v_fma_f32 v39, v85, v16, -v20
	v_add_f32_e32 v20, v119, v38
	v_mul_f32_e32 v85, v85, v17
	v_fmac_f32_e32 v70, v90, v12
	v_sub_f32_e32 v102, v119, v38
	v_add_f32_e32 v21, v39, v121
	v_add_f32_e32 v69, v71, v39
	v_fma_f32 v20, -0.5, v20, v71
	v_fmac_f32_e32 v85, v86, v16
	v_sub_f32_e32 v89, v70, v111
	v_fma_f32 v71, -0.5, v21, v71
	v_sub_f32_e32 v21, v119, v39
	v_sub_f32_e32 v90, v109, v70
	v_add_f32_e32 v86, v72, v85
	v_sub_f32_e32 v101, v85, v111
	v_sub_f32_e32 v108, v39, v121
	v_add_f32_e32 v35, v21, v34
	v_add_f32_e32 v21, v109, v70
	;; [unrolled: 1-line block ×3, first 2 shown]
	v_sub_f32_e32 v39, v39, v119
	v_fma_f32 v21, -0.5, v21, v72
	v_fmac_f32_e32 v72, -0.5, v34
	v_sub_f32_e32 v34, v109, v85
	v_add_f32_e32 v89, v34, v89
	v_fmamk_f32 v34, v90, 0xbf737871, v71
	v_fmac_f32_e32 v71, 0x3f737871, v90
	v_fmac_f32_e32 v34, 0x3f167918, v101
	;; [unrolled: 1-line block ×5, first 2 shown]
	v_fmamk_f32 v35, v102, 0x3f737871, v72
	v_fmac_f32_e32 v72, 0xbf737871, v102
	v_fmac_f32_e32 v35, 0xbf167918, v108
	;; [unrolled: 1-line block ×5, first 2 shown]
	ds_write2_b64 v110, v[34:35], v[71:72] offset0:22 offset1:33
	v_add_f32_e32 v35, v86, v109
	v_add_f32_e32 v35, v35, v70
	v_sub_f32_e32 v70, v111, v70
	v_add_f32_e32 v35, v35, v111
	v_mul_f32_e32 v34, v88, v61
	v_mul_f32_e32 v72, v87, v61
	v_fma_f32 v71, v87, v60, -v34
	v_mul_f32_e32 v34, v92, v57
	v_fmac_f32_e32 v72, v88, v60
	v_mul_f32_e32 v88, v91, v57
	v_fma_f32 v87, v91, v56, -v34
	v_mul_f32_e32 v34, v94, v63
	v_fmac_f32_e32 v88, v92, v56
	v_mul_f32_e32 v91, v93, v63
	v_fma_f32 v89, v93, v62, -v34
	v_mul_f32_e32 v34, v96, v55
	v_fmac_f32_e32 v91, v94, v62
	v_mul_f32_e32 v93, v95, v55
	v_fma_f32 v92, v95, v54, -v34
	v_mul_f32_e32 v34, v98, v59
	v_fmac_f32_e32 v93, v96, v54
	v_mul_f32_e32 v95, v97, v59
	v_fma_f32 v94, v97, v58, -v34
	v_mul_f32_e32 v34, v100, v51
	v_fmac_f32_e32 v95, v98, v58
	v_mul_f32_e32 v97, v99, v51
	v_sub_f32_e32 v98, v89, v87
	v_sub_f32_e32 v86, v71, v94
	v_fma_f32 v96, v99, v50, -v34
	v_add_f32_e32 v34, v69, v119
	v_sub_f32_e32 v69, v85, v109
	v_fmac_f32_e32 v97, v100, v50
	v_add_f32_e32 v34, v34, v38
	v_sub_f32_e32 v38, v121, v38
	v_add_f32_e32 v69, v69, v70
	v_add_f32_e32 v34, v34, v121
	;; [unrolled: 1-line block ×3, first 2 shown]
	v_fmamk_f32 v38, v101, 0x3f737871, v20
	v_fmamk_f32 v39, v108, 0xbf737871, v21
	v_fmac_f32_e32 v20, 0xbf737871, v101
	v_fmac_f32_e32 v21, 0x3f737871, v108
	;; [unrolled: 1-line block ×6, first 2 shown]
	v_sub_f32_e32 v90, v91, v88
	v_fmac_f32_e32 v38, 0x3e9e377a, v85
	v_fmac_f32_e32 v39, 0x3e9e377a, v69
	;; [unrolled: 1-line block ×4, first 2 shown]
	v_sub_f32_e32 v85, v72, v95
	ds_write2_b64 v110, v[34:35], v[38:39] offset1:11
	v_sub_f32_e32 v34, v72, v91
	ds_write_b64 v110, v[20:21] offset:352
	v_mul_u32_u24_sdwa v20, v105, v68 dst_sel:DWORD dst_unused:UNUSED_PAD src0_sel:WORD_0 src1_sel:DWORD
	v_sub_f32_e32 v21, v94, v87
	v_sub_f32_e32 v35, v95, v88
	v_add_lshl_u32 v99, v20, v107, 3
	v_sub_f32_e32 v20, v71, v89
	v_add_f32_e32 v70, v34, v35
	v_add_f32_e32 v34, v73, v71
	;; [unrolled: 1-line block ×3, first 2 shown]
	buffer_store_dword v99, off, s[20:23], 0 offset:116 ; 4-byte Folded Spill
	v_add_f32_e32 v69, v20, v21
	v_add_f32_e32 v20, v89, v87
	;; [unrolled: 1-line block ×5, first 2 shown]
	v_fma_f32 v20, -0.5, v20, v73
	v_fma_f32 v21, -0.5, v21, v74
	v_add_f32_e32 v34, v34, v87
	v_add_f32_e32 v35, v35, v88
	v_fmamk_f32 v38, v85, 0x3f737871, v20
	v_fmamk_f32 v39, v86, 0xbf737871, v21
	v_add_f32_e32 v34, v34, v94
	v_add_f32_e32 v35, v35, v95
	v_fmac_f32_e32 v20, 0xbf737871, v85
	v_fmac_f32_e32 v38, 0x3f167918, v90
	;; [unrolled: 1-line block ×9, first 2 shown]
	v_mul_f32_e32 v69, v81, v49
	ds_write2_b64 v99, v[34:35], v[38:39] offset1:11
	v_sub_f32_e32 v34, v89, v71
	v_sub_f32_e32 v35, v87, v94
	v_add_f32_e32 v38, v71, v94
	v_add_f32_e32 v71, v72, v95
	v_sub_f32_e32 v39, v91, v72
	v_sub_f32_e32 v72, v88, v95
	v_add_f32_e32 v87, v34, v35
	v_fma_f32 v34, -0.5, v38, v73
	v_fma_f32 v35, -0.5, v71, v74
	v_fmac_f32_e32 v21, 0x3e9e377a, v70
	v_add_f32_e32 v71, v39, v72
	v_mul_f32_e32 v70, v77, v53
	v_fmamk_f32 v38, v90, 0xbf737871, v34
	v_fmac_f32_e32 v34, 0x3f737871, v90
	v_fmamk_f32 v39, v98, 0x3f737871, v35
	v_fmac_f32_e32 v35, 0xbf737871, v98
	ds_write_b64 v99, v[20:21] offset:352
	v_fmac_f32_e32 v38, 0x3f167918, v85
	v_fmac_f32_e32 v34, 0xbf167918, v85
	v_fmac_f32_e32 v39, 0xbf167918, v86
	v_fmac_f32_e32 v35, 0x3f167918, v86
	v_mul_u32_u24_sdwa v20, v106, v68 dst_sel:DWORD dst_unused:UNUSED_PAD src0_sel:WORD_0 src1_sel:DWORD
	v_fmac_f32_e32 v38, 0x3e9e377a, v87
	v_fmac_f32_e32 v34, 0x3e9e377a, v87
	;; [unrolled: 1-line block ×4, first 2 shown]
	v_add_lshl_u32 v85, v20, v131, 3
	v_mul_f32_e32 v20, v82, v49
	v_fmac_f32_e32 v69, v82, v48
	v_fmac_f32_e32 v70, v78, v52
	ds_write2_b64 v99, v[38:39], v[34:35] offset0:22 offset1:33
	buffer_store_dword v85, off, s[20:23], 0 offset:120 ; 4-byte Folded Spill
	v_fma_f32 v38, v81, v48, -v20
	v_mul_f32_e32 v20, v78, v53
	v_add_f32_e32 v71, v76, v70
	v_sub_f32_e32 v72, v69, v97
	v_sub_f32_e32 v73, v93, v69
	;; [unrolled: 1-line block ×3, first 2 shown]
	v_fma_f32 v39, v77, v52, -v20
	v_add_f32_e32 v20, v92, v38
	v_sub_f32_e32 v74, v70, v97
	v_sub_f32_e32 v77, v92, v38
	v_mul_f32_e32 v81, v83, v41
	v_add_f32_e32 v21, v39, v96
	v_add_f32_e32 v68, v75, v39
	v_fma_f32 v20, -0.5, v20, v75
	v_sub_f32_e32 v78, v39, v96
	v_fmac_f32_e32 v81, v84, v40
	v_fma_f32 v75, -0.5, v21, v75
	v_sub_f32_e32 v21, v92, v39
	v_add_f32_e32 v35, v21, v34
	v_add_f32_e32 v21, v93, v69
	;; [unrolled: 1-line block ×3, first 2 shown]
	v_fma_f32 v21, -0.5, v21, v76
	v_fmac_f32_e32 v76, -0.5, v34
	v_sub_f32_e32 v34, v93, v70
	v_add_f32_e32 v72, v34, v72
	v_fmamk_f32 v34, v73, 0xbf737871, v75
	v_fmac_f32_e32 v75, 0x3f737871, v73
	v_fmac_f32_e32 v34, 0x3f167918, v74
	v_fmac_f32_e32 v75, 0xbf167918, v74
	v_fmac_f32_e32 v34, 0x3e9e377a, v35
	v_fmac_f32_e32 v75, 0x3e9e377a, v35
	v_fmamk_f32 v35, v77, 0x3f737871, v76
	v_fmac_f32_e32 v76, 0xbf737871, v77
	v_fmac_f32_e32 v35, 0xbf167918, v78
	;; [unrolled: 1-line block ×5, first 2 shown]
	ds_write2_b64 v85, v[34:35], v[75:76] offset0:22 offset1:33
	v_mul_f32_e32 v34, v80, v45
	v_mul_f32_e32 v75, v79, v45
	v_add_f32_e32 v35, v71, v93
	v_fma_f32 v72, v79, v44, -v34
	v_mul_f32_e32 v34, v37, v47
	v_fmac_f32_e32 v75, v80, v44
	v_mul_f32_e32 v79, v36, v47
	v_add_f32_e32 v35, v35, v69
	v_fma_f32 v76, v36, v46, -v34
	v_mul_f32_e32 v34, v84, v41
	v_fmac_f32_e32 v79, v37, v46
	v_sub_f32_e32 v36, v39, v92
	v_sub_f32_e32 v37, v70, v93
	;; [unrolled: 1-line block ×3, first 2 shown]
	v_fma_f32 v80, v83, v40, -v34
	v_add_f32_e32 v34, v68, v92
	v_add_f32_e32 v35, v35, v97
	v_sub_f32_e32 v68, v79, v81
	v_add_f32_e32 v39, v37, v39
	v_fmamk_f32 v37, v78, 0xbf737871, v21
	v_add_f32_e32 v34, v34, v38
	v_sub_f32_e32 v38, v96, v38
	v_fmac_f32_e32 v21, 0x3f737871, v78
	v_add_f32_e32 v69, v33, v75
	v_fmac_f32_e32 v37, 0xbf167918, v77
	v_add_f32_e32 v34, v34, v96
	v_add_f32_e32 v38, v36, v38
	v_fmamk_f32 v36, v74, 0x3f737871, v20
	v_fmac_f32_e32 v20, 0xbf737871, v74
	v_fmac_f32_e32 v37, 0x3e9e377a, v39
	v_fmac_f32_e32 v21, 0x3f167918, v77
	v_sub_f32_e32 v71, v72, v76
	v_fmac_f32_e32 v36, 0x3f167918, v73
	v_fmac_f32_e32 v20, 0xbf167918, v73
	v_sub_f32_e32 v67, v75, v79
	v_fmac_f32_e32 v21, 0x3e9e377a, v39
	v_fmac_f32_e32 v36, 0x3e9e377a, v38
	;; [unrolled: 1-line block ×3, first 2 shown]
	ds_write2_b64 v85, v[34:35], v[36:37] offset1:11
	v_mul_f32_e32 v34, v104, v43
	v_mul_f32_e32 v35, v103, v43
	ds_write_b64 v85, v[20:21] offset:352
	v_add_f32_e32 v20, v76, v80
	v_add_f32_e32 v37, v32, v72
	v_fma_f32 v36, v103, v42, -v34
	v_fmac_f32_e32 v35, v104, v42
	v_fma_f32 v20, -0.5, v20, v32
	v_add_f32_e32 v37, v37, v76
	v_add_f32_e32 v21, v72, v36
	v_sub_f32_e32 v34, v80, v36
	v_sub_f32_e32 v39, v75, v35
	v_sub_f32_e32 v70, v81, v35
	v_add_f32_e32 v37, v37, v80
	v_fma_f32 v32, -0.5, v21, v32
	v_sub_f32_e32 v21, v76, v72
	v_sub_f32_e32 v72, v72, v36
	;; [unrolled: 1-line block ×3, first 2 shown]
	v_add_f32_e32 v36, v37, v36
	v_sub_f32_e32 v74, v35, v81
	v_add_f32_e32 v38, v21, v34
	v_fmamk_f32 v34, v68, 0xbf737871, v32
	v_fmac_f32_e32 v32, 0x3f737871, v68
	v_add_f32_e32 v21, v79, v81
	v_add_f32_e32 v71, v71, v73
	;; [unrolled: 1-line block ×3, first 2 shown]
	v_fmac_f32_e32 v34, 0x3f167918, v39
	v_fmac_f32_e32 v32, 0xbf167918, v39
	v_fma_f32 v21, -0.5, v21, v33
	v_fmac_f32_e32 v34, 0x3e9e377a, v38
	v_fmac_f32_e32 v32, 0x3e9e377a, v38
	v_add_f32_e32 v38, v75, v35
	v_fmac_f32_e32 v33, -0.5, v38
	v_sub_f32_e32 v38, v79, v75
	v_add_f32_e32 v70, v38, v70
	v_add_f32_e32 v38, v69, v79
	v_sub_f32_e32 v69, v76, v80
	v_add_f32_e32 v38, v38, v81
	v_add_f32_e32 v37, v38, v35
	v_fmamk_f32 v38, v39, 0x3f737871, v20
	v_fmac_f32_e32 v20, 0xbf737871, v39
	v_fmamk_f32 v35, v69, 0x3f737871, v33
	v_fmac_f32_e32 v33, 0xbf737871, v69
	;; [unrolled: 2-line block ×3, first 2 shown]
	v_fmac_f32_e32 v20, 0xbf167918, v68
	v_fmac_f32_e32 v35, 0xbf167918, v72
	;; [unrolled: 1-line block ×12, first 2 shown]
	ds_write2_b64 v66, v[34:35], v[32:33] offset0:22 offset1:33
	ds_write2_b64 v66, v[36:37], v[38:39] offset1:11
	buffer_store_dword v132, off, s[20:23], 0 ; 4-byte Folded Spill
	buffer_store_dword v66, off, s[20:23], 0 offset:124 ; 4-byte Folded Spill
	ds_write_b64 v66, v[20:21] offset:352
	s_waitcnt lgkmcnt(0)
	s_waitcnt_vscnt null, 0x0
	s_barrier
	buffer_gl0_inv
	s_clause 0x1
	global_load_dwordx4 v[32:35], v118, s[2:3] offset:352
	global_load_dwordx4 v[36:39], v118, s[2:3] offset:368
	ds_read2_b64 v[66:69], v146 offset0:38 offset1:93
	ds_read2_b64 v[88:91], v142 offset0:92 offset1:147
	;; [unrolled: 1-line block ×3, first 2 shown]
	ds_read2_b64 v[98:101], v235 offset1:55
	s_waitcnt vmcnt(1) lgkmcnt(3)
	v_mul_f32_e32 v20, v67, v35
	v_mul_f32_e32 v121, v66, v35
	;; [unrolled: 1-line block ×3, first 2 shown]
	s_waitcnt vmcnt(0) lgkmcnt(1)
	v_mul_f32_e32 v131, v94, v37
	v_mul_f32_e32 v133, v90, v33
	v_fma_f32 v122, v66, v34, -v20
	v_mul_f32_e32 v20, v69, v35
	v_fmac_f32_e32 v121, v67, v34
	v_fmac_f32_e32 v120, v69, v34
	;; [unrolled: 1-line block ×4, first 2 shown]
	v_fma_f32 v119, v68, v34, -v20
	ds_read2_b64 v[66:69], v162 offset0:76 offset1:131
	v_sub_f32_e32 v159, v121, v131
	s_waitcnt lgkmcnt(0)
	v_mul_f32_e32 v20, v67, v39
	v_mul_f32_e32 v126, v66, v39
	;; [unrolled: 1-line block ×3, first 2 shown]
	v_fma_f32 v127, v66, v38, -v20
	v_mul_f32_e32 v20, v69, v39
	v_fmac_f32_e32 v126, v67, v38
	v_sub_f32_e32 v67, v133, v121
	v_fmac_f32_e32 v125, v69, v38
	v_fma_f32 v123, v68, v38, -v20
	v_mov_b32_e32 v20, 0x29e5
	v_sub_f32_e32 v68, v126, v131
	v_sub_f32_e32 v141, v133, v126
	v_mul_u32_u24_sdwa v20, v124, v20 dst_sel:DWORD dst_unused:UNUSED_PAD src0_sel:WORD_0 src1_sel:DWORD
	v_add_f32_e32 v132, v67, v68
	v_add_f32_e32 v68, v99, v133
	v_lshrrev_b32_e32 v20, 16, v20
	v_add_f32_e32 v68, v68, v121
	v_sub_nc_u16 v21, v124, v20
	v_add_f32_e32 v68, v68, v131
	v_lshrrev_b16 v21, 1, v21
	v_add_f32_e32 v140, v68, v126
	v_add_nc_u16 v66, v21, v20
	v_mul_f32_e32 v20, v91, v33
	v_sub_nc_u16 v91, v116, v65
	v_lshrrev_b16 v66, 5, v66
	v_fma_f32 v128, v90, v32, -v20
	v_mul_f32_e32 v20, v95, v37
	v_sub_nc_u16 v90, v114, v64
	v_mul_lo_u16 v66, v66, 55
	v_add_f32_e32 v67, v98, v128
	v_fma_f32 v129, v94, v36, -v20
	v_sub_f32_e32 v20, v128, v122
	v_sub_f32_e32 v158, v128, v127
	v_sub_nc_u16 v134, v124, v66
	v_add_f32_e32 v67, v67, v122
	v_sub_f32_e32 v21, v127, v129
	v_sub_f32_e32 v160, v122, v129
	v_lshlrev_b16 v66, 5, v134
	v_add_f32_e32 v67, v67, v129
	v_add_f32_e32 v130, v20, v21
	;; [unrolled: 1-line block ×4, first 2 shown]
	v_and_b32_e32 v66, 0xffff, v66
	v_add_f32_e32 v139, v67, v127
	v_sub_f32_e32 v121, v121, v133
	v_fma_f32 v20, -0.5, v20, v98
	v_fma_f32 v21, -0.5, v21, v99
	v_add_co_u32 v64, s0, s2, v66
	v_add_co_ci_u32_e64 v65, null, s3, 0, s0
	v_mov_b32_e32 v66, 5
	v_fmamk_f32 v144, v141, 0x3f737871, v20
	v_fmamk_f32 v145, v158, 0xbf737871, v21
	v_fmac_f32_e32 v20, 0xbf737871, v141
	v_fmac_f32_e32 v21, 0x3f737871, v158
	v_lshlrev_b32_sdwa v72, v66, v90 dst_sel:DWORD dst_unused:UNUSED_PAD src0_sel:DWORD src1_sel:BYTE_0
	v_lshlrev_b32_sdwa v73, v66, v91 dst_sel:DWORD dst_unused:UNUSED_PAD src0_sel:DWORD src1_sel:BYTE_0
	s_clause 0x1
	global_load_dwordx4 v[68:71], v[64:65], off offset:352
	global_load_dwordx4 v[64:67], v[64:65], off offset:368
	ds_read_b64 v[156:157], v235 offset:10560
	s_clause 0x3
	global_load_dwordx4 v[84:87], v72, s[2:3] offset:352
	global_load_dwordx4 v[80:83], v72, s[2:3] offset:368
	;; [unrolled: 1-line block ×4, first 2 shown]
	ds_read2_b64 v[135:138], v143 offset0:74 offset1:129
	ds_read2_b64 v[148:151], v147 offset0:112 offset1:167
	ds_read2_b64 v[94:97], v235 offset0:110 offset1:165
	ds_read2_b64 v[110:113], v146 offset0:148 offset1:203
	ds_read2_b64 v[102:105], v162 offset0:186 offset1:241
	ds_read2_b64 v[152:155], v143 offset0:184 offset1:239
	ds_read2_b64 v[106:109], v163 offset0:94 offset1:149
	v_fmac_f32_e32 v144, 0x3f167918, v159
	v_fmac_f32_e32 v145, 0xbf167918, v160
	s_waitcnt vmcnt(0) lgkmcnt(0)
	s_barrier
	buffer_gl0_inv
	v_fmac_f32_e32 v144, 0x3e9e377a, v130
	v_fmac_f32_e32 v145, 0x3e9e377a, v132
	;; [unrolled: 1-line block ×4, first 2 shown]
	ds_write2_b64 v235, v[139:140], v[144:145] offset1:55
	v_fmac_f32_e32 v20, 0x3e9e377a, v130
	v_mul_f32_e32 v139, v136, v33
	v_fmac_f32_e32 v21, 0x3e9e377a, v132
	v_fma_f32 v144, v135, v32, -v139
	v_mul_f32_e32 v139, v149, v37
	v_mul_f32_e32 v135, v135, v33
	v_add_f32_e32 v165, v100, v144
	v_fma_f32 v161, v148, v36, -v139
	v_sub_f32_e32 v139, v144, v119
	v_mul_f32_e32 v148, v148, v37
	v_fmac_f32_e32 v135, v136, v32
	v_sub_f32_e32 v170, v144, v123
	v_sub_f32_e32 v140, v123, v161
	;; [unrolled: 1-line block ×3, first 2 shown]
	v_fmac_f32_e32 v148, v149, v36
	v_sub_f32_e32 v136, v135, v120
	v_add_f32_e32 v167, v101, v135
	v_add_f32_e32 v164, v139, v140
	v_add_f32_e32 v139, v119, v161
	v_add_f32_e32 v140, v144, v123
	v_sub_f32_e32 v169, v135, v125
	v_sub_f32_e32 v171, v120, v148
	v_sub_f32_e32 v172, v119, v161
	v_fma_f32 v139, -0.5, v139, v100
	v_fma_f32 v100, -0.5, v140, v100
	v_sub_f32_e32 v140, v119, v144
	v_fmamk_f32 v144, v171, 0xbf737871, v100
	v_add_f32_e32 v166, v140, v145
	v_sub_f32_e32 v145, v125, v148
	v_add_f32_e32 v140, v120, v148
	v_fmac_f32_e32 v100, 0x3f737871, v171
	v_fmac_f32_e32 v144, 0x3f167918, v169
	v_add_f32_e32 v149, v136, v145
	v_add_f32_e32 v136, v135, v125
	v_fma_f32 v140, -0.5, v140, v101
	v_sub_f32_e32 v145, v148, v125
	v_fmac_f32_e32 v100, 0xbf167918, v169
	v_fmac_f32_e32 v144, 0x3e9e377a, v166
	v_fmac_f32_e32 v101, -0.5, v136
	v_sub_f32_e32 v136, v120, v135
	v_fmamk_f32 v135, v169, 0x3f737871, v139
	v_fmac_f32_e32 v139, 0xbf737871, v169
	v_fmac_f32_e32 v100, 0x3e9e377a, v166
	v_add_f32_e32 v168, v136, v145
	v_fmamk_f32 v136, v170, 0xbf737871, v140
	v_fmac_f32_e32 v140, 0x3f737871, v170
	v_fmamk_f32 v145, v172, 0x3f737871, v101
	v_fmac_f32_e32 v101, 0xbf737871, v172
	v_fmac_f32_e32 v139, 0xbf167918, v171
	v_fmac_f32_e32 v135, 0x3f167918, v171
	v_fmac_f32_e32 v140, 0x3f167918, v172
	v_fmac_f32_e32 v136, 0xbf167918, v172
	v_fmac_f32_e32 v101, 0x3f167918, v170
	v_fmac_f32_e32 v139, 0x3e9e377a, v164
	v_fmac_f32_e32 v145, 0xbf167918, v170
	v_fmac_f32_e32 v140, 0x3e9e377a, v149
	v_fmac_f32_e32 v135, 0x3e9e377a, v164
	v_fmac_f32_e32 v101, 0x3e9e377a, v168
	v_fmac_f32_e32 v136, 0x3e9e377a, v149
	v_fmac_f32_e32 v145, 0x3e9e377a, v168
	ds_write2_b64 v143, v[100:101], v[139:140] offset0:184 offset1:239
	v_add_f32_e32 v100, v128, v127
	v_add_f32_e32 v101, v133, v126
	ds_write2_b64 v143, v[135:136], v[144:145] offset0:74 offset1:129
	v_fma_f32 v98, -0.5, v100, v98
	v_fma_f32 v99, -0.5, v101, v99
	v_mul_f32_e32 v100, v93, v71
	v_mul_f32_e32 v101, v92, v71
	;; [unrolled: 1-line block ×4, first 2 shown]
	v_fma_f32 v100, v92, v70, -v100
	v_fmac_f32_e32 v101, v93, v70
	v_sub_f32_e32 v92, v122, v128
	v_sub_f32_e32 v93, v129, v127
	;; [unrolled: 1-line block ×3, first 2 shown]
	v_fmac_f32_e32 v132, v138, v84
	v_fmac_f32_e32 v136, v153, v76
	v_add_f32_e32 v93, v92, v93
	v_fmamk_f32 v92, v159, 0xbf737871, v98
	v_fmac_f32_e32 v98, 0x3f737871, v159
	v_add_f32_e32 v121, v121, v122
	v_add_f32_e32 v140, v97, v136
	v_fmac_f32_e32 v92, 0x3f167918, v141
	v_fmac_f32_e32 v98, 0xbf167918, v141
	;; [unrolled: 1-line block ×4, first 2 shown]
	v_fmamk_f32 v93, v160, 0x3f737871, v99
	v_fmac_f32_e32 v99, 0xbf737871, v160
	v_fmac_f32_e32 v93, 0xbf167918, v158
	v_fmac_f32_e32 v99, 0x3f167918, v158
	v_fmac_f32_e32 v93, 0x3e9e377a, v121
	v_fmac_f32_e32 v99, 0x3e9e377a, v121
	ds_write2_b64 v235, v[92:93], v[98:99] offset0:110 offset1:165
	v_add_f32_e32 v92, v165, v119
	v_add_f32_e32 v93, v167, v120
	v_mul_f32_e32 v120, v156, v67
	v_add_f32_e32 v92, v92, v161
	v_add_f32_e32 v93, v93, v148
	v_fmac_f32_e32 v120, v157, v66
	v_add_f32_e32 v92, v92, v123
	v_add_f32_e32 v93, v93, v125
	ds_write2_b64 v142, v[20:21], v[92:93] offset0:92 offset1:147
	v_mul_f32_e32 v20, v157, v67
	v_fma_f32 v119, v156, v66, -v20
	v_mul_f32_e32 v20, v109, v65
	v_fma_f32 v121, v108, v64, -v20
	v_mul_f32_e32 v20, v155, v69
	v_mul_f32_e32 v108, v108, v65
	v_sub_f32_e32 v93, v121, v119
	v_fma_f32 v122, v154, v68, -v20
	v_fmac_f32_e32 v108, v109, v64
	v_mul_f32_e32 v109, v154, v69
	v_add_f32_e32 v20, v100, v121
	v_sub_f32_e32 v128, v100, v121
	v_add_f32_e32 v21, v122, v119
	v_sub_f32_e32 v92, v100, v122
	v_fmac_f32_e32 v109, v155, v68
	v_add_f32_e32 v123, v88, v122
	v_fma_f32 v20, -0.5, v20, v88
	v_fma_f32 v88, -0.5, v21, v88
	v_add_f32_e32 v21, v101, v108
	v_add_f32_e32 v93, v92, v93
	;; [unrolled: 1-line block ×4, first 2 shown]
	v_sub_f32_e32 v98, v108, v120
	v_fma_f32 v21, -0.5, v21, v89
	v_sub_f32_e32 v126, v101, v108
	v_fmac_f32_e32 v89, -0.5, v92
	v_sub_f32_e32 v92, v101, v109
	v_sub_f32_e32 v127, v109, v120
	;; [unrolled: 1-line block ×3, first 2 shown]
	v_lshlrev_b32_sdwa v154, v117, v134 dst_sel:DWORD dst_unused:UNUSED_PAD src0_sel:DWORD src1_sel:WORD_0
	v_mul_f32_e32 v134, v150, v81
	v_add_f32_e32 v98, v92, v98
	v_fmamk_f32 v92, v126, 0xbf737871, v88
	v_fmac_f32_e32 v88, 0x3f737871, v126
	v_add_nc_u32_e32 v130, 0x2000, v154
	v_fmac_f32_e32 v134, v151, v80
	buffer_store_dword v154, off, s[20:23], 0 offset:128 ; 4-byte Folded Spill
	v_fmac_f32_e32 v92, 0x3f167918, v127
	v_fmac_f32_e32 v88, 0xbf167918, v127
	;; [unrolled: 1-line block ×4, first 2 shown]
	v_fmamk_f32 v93, v128, 0x3f737871, v89
	v_fmac_f32_e32 v89, 0xbf737871, v128
	v_fmac_f32_e32 v93, 0xbf167918, v129
	;; [unrolled: 1-line block ×5, first 2 shown]
	ds_write2_b64 v130, v[92:93], v[88:89] offset0:186 offset1:241
	v_mul_f32_e32 v88, v138, v85
	v_fma_f32 v131, v137, v84, -v88
	v_mul_f32_e32 v88, v151, v81
	v_fma_f32 v133, v150, v80, -v88
	v_mul_f32_e32 v88, v153, v77
	v_lshlrev_b32_sdwa v153, v117, v90 dst_sel:DWORD dst_unused:UNUSED_PAD src0_sel:DWORD src1_sel:BYTE_0
	v_fma_f32 v135, v152, v76, -v88
	v_mul_f32_e32 v88, v111, v87
	v_lshlrev_b32_sdwa v152, v117, v91 dst_sel:DWORD dst_unused:UNUSED_PAD src0_sel:DWORD src1_sel:BYTE_0
	buffer_store_dword v153, off, s[20:23], 0 offset:136 ; 4-byte Folded Spill
	v_fma_f32 v137, v110, v86, -v88
	v_mul_f32_e32 v110, v110, v87
	v_mul_f32_e32 v88, v113, v79
	v_add_nc_u32_e32 v145, 0x1800, v152
	buffer_store_dword v152, off, s[20:23], 0 offset:132 ; 4-byte Folded Spill
	v_add_f32_e32 v91, v137, v133
	v_fmac_f32_e32 v110, v111, v86
	v_fma_f32 v111, v112, v78, -v88
	v_mul_f32_e32 v112, v112, v79
	v_mul_f32_e32 v88, v107, v73
	v_fma_f32 v91, -0.5, v91, v94
	v_sub_f32_e32 v150, v110, v134
	v_sub_f32_e32 v151, v137, v133
	v_fmac_f32_e32 v112, v113, v78
	v_fma_f32 v113, v106, v72, -v88
	v_mul_f32_e32 v106, v106, v73
	v_mul_f32_e32 v88, v103, v83
	v_sub_f32_e32 v141, v111, v113
	v_fmac_f32_e32 v106, v107, v72
	v_fma_f32 v107, v102, v82, -v88
	v_mul_f32_e32 v102, v102, v83
	v_mul_f32_e32 v88, v105, v75
	v_sub_f32_e32 v138, v112, v106
	v_sub_f32_e32 v117, v131, v107
	v_fmac_f32_e32 v102, v103, v82
	v_fma_f32 v103, v104, v74, -v88
	v_mul_f32_e32 v104, v104, v75
	v_add_f32_e32 v88, v111, v113
	v_sub_f32_e32 v90, v132, v102
	v_add_f32_e32 v89, v135, v103
	v_fmac_f32_e32 v104, v105, v74
	v_add_f32_e32 v105, v96, v135
	v_fma_f32 v88, -0.5, v88, v96
	v_sub_f32_e32 v92, v113, v103
	v_fma_f32 v96, -0.5, v89, v96
	v_sub_f32_e32 v89, v111, v135
	v_sub_f32_e32 v139, v136, v104
	;; [unrolled: 1-line block ×4, first 2 shown]
	v_add_f32_e32 v93, v89, v92
	v_fmamk_f32 v92, v138, 0xbf737871, v96
	v_fmac_f32_e32 v96, 0x3f737871, v138
	v_add_f32_e32 v89, v112, v106
	v_fmac_f32_e32 v92, 0x3f167918, v139
	v_fmac_f32_e32 v96, 0xbf167918, v139
	v_fma_f32 v89, -0.5, v89, v97
	v_fmac_f32_e32 v92, 0x3e9e377a, v93
	v_fmac_f32_e32 v96, 0x3e9e377a, v93
	v_add_f32_e32 v93, v136, v104
	v_fmac_f32_e32 v97, -0.5, v93
	v_sub_f32_e32 v93, v112, v136
	v_add_f32_e32 v98, v93, v98
	v_fmamk_f32 v93, v141, 0x3f737871, v97
	v_fmac_f32_e32 v97, 0xbf737871, v141
	v_fmac_f32_e32 v93, 0xbf167918, v144
	;; [unrolled: 1-line block ×5, first 2 shown]
	v_sub_f32_e32 v98, v107, v133
	ds_write2_b64 v145, v[92:93], v[96:97] offset0:167 offset1:222
	v_add_f32_e32 v92, v110, v134
	v_add_f32_e32 v93, v131, v107
	;; [unrolled: 1-line block ×3, first 2 shown]
	v_fma_f32 v92, -0.5, v92, v95
	v_fma_f32 v96, -0.5, v93, v94
	;; [unrolled: 1-line block ×3, first 2 shown]
	v_add_f32_e32 v93, v94, v131
	v_add_f32_e32 v94, v95, v132
	v_sub_f32_e32 v95, v131, v137
	v_fmamk_f32 v99, v117, 0xbf737871, v92
	v_fmac_f32_e32 v92, 0x3f737871, v117
	v_add_f32_e32 v93, v93, v137
	v_add_f32_e32 v94, v94, v110
	;; [unrolled: 1-line block ×3, first 2 shown]
	v_sub_f32_e32 v95, v132, v110
	v_sub_f32_e32 v98, v102, v134
	v_add_f32_e32 v93, v93, v133
	v_add_f32_e32 v94, v94, v134
	v_fmac_f32_e32 v99, 0xbf167918, v151
	v_fmac_f32_e32 v92, 0x3f167918, v151
	v_add_f32_e32 v149, v95, v98
	v_fmamk_f32 v98, v90, 0x3f737871, v91
	v_add_f32_e32 v93, v93, v107
	v_add_f32_e32 v94, v94, v102
	v_add_nc_u32_e32 v95, 0x1000, v153
	v_fmac_f32_e32 v99, 0x3e9e377a, v149
	v_fmac_f32_e32 v98, 0x3f167918, v150
	;; [unrolled: 1-line block ×6, first 2 shown]
	ds_write2_b64 v95, v[93:94], v[98:99] offset0:38 offset1:93
	v_sub_f32_e32 v93, v137, v131
	v_sub_f32_e32 v94, v133, v107
	;; [unrolled: 1-line block ×4, first 2 shown]
	v_fmac_f32_e32 v91, 0x3e9e377a, v148
	v_add_f32_e32 v94, v93, v94
	v_fmamk_f32 v93, v150, 0xbf737871, v96
	v_fmac_f32_e32 v96, 0x3f737871, v150
	v_add_f32_e32 v98, v98, v99
	v_sub_f32_e32 v99, v119, v121
	ds_write_b64 v153, v[91:92] offset:6160
	v_fmac_f32_e32 v93, 0x3f167918, v90
	v_fmac_f32_e32 v96, 0xbf167918, v90
	v_lshlrev_b32_e32 v90, 5, v115
	v_fmac_f32_e32 v93, 0x3e9e377a, v94
	v_fmac_f32_e32 v96, 0x3e9e377a, v94
	v_fmamk_f32 v94, v151, 0x3f737871, v97
	v_fmac_f32_e32 v97, 0xbf737871, v151
	v_fmac_f32_e32 v94, 0xbf167918, v117
	;; [unrolled: 1-line block ×5, first 2 shown]
	v_sub_f32_e32 v98, v104, v106
	ds_write2_b64 v95, v[93:94], v[96:97] offset0:148 offset1:203
	v_sub_f32_e32 v95, v135, v111
	v_sub_f32_e32 v96, v136, v112
	v_sub_f32_e32 v97, v103, v113
	v_add_f32_e32 v93, v105, v111
	v_add_f32_e32 v94, v140, v112
	;; [unrolled: 1-line block ×4, first 2 shown]
	v_fmamk_f32 v95, v139, 0x3f737871, v88
	v_fmamk_f32 v96, v144, 0xbf737871, v89
	v_add_f32_e32 v93, v93, v113
	v_add_f32_e32 v94, v94, v106
	v_fmac_f32_e32 v88, 0xbf737871, v139
	v_fmac_f32_e32 v95, 0x3f167918, v138
	;; [unrolled: 1-line block ×3, first 2 shown]
	v_add_f32_e32 v93, v93, v103
	v_add_f32_e32 v94, v94, v104
	v_fmac_f32_e32 v89, 0x3f737871, v144
	v_fmac_f32_e32 v95, 0x3e9e377a, v97
	;; [unrolled: 1-line block ×5, first 2 shown]
	ds_write2_b64 v145, v[93:94], v[95:96] offset0:57 offset1:112
	v_add_f32_e32 v93, v123, v100
	v_sub_f32_e32 v95, v122, v100
	v_sub_f32_e32 v96, v109, v101
	;; [unrolled: 1-line block ×3, first 2 shown]
	v_fmac_f32_e32 v88, 0x3e9e377a, v97
	v_fmac_f32_e32 v89, 0x3e9e377a, v98
	v_add_f32_e32 v99, v95, v99
	v_fmamk_f32 v95, v127, 0x3f737871, v20
	v_add_f32_e32 v100, v96, v100
	v_fmamk_f32 v96, v129, 0xbf737871, v21
	v_fmac_f32_e32 v20, 0xbf737871, v127
	v_fmac_f32_e32 v21, 0x3f737871, v129
	v_add_f32_e32 v94, v125, v101
	ds_write_b64 v152, v[88:89] offset:8360
	v_add_co_u32 v88, s0, s2, v118
	v_fmac_f32_e32 v20, 0xbf167918, v126
	v_fmac_f32_e32 v21, 0x3f167918, v128
	v_add_co_ci_u32_e64 v89, null, s3, 0, s0
	v_add_f32_e32 v93, v93, v121
	v_fmac_f32_e32 v20, 0x3e9e377a, v99
	v_fmac_f32_e32 v21, 0x3e9e377a, v100
	v_add_f32_e32 v94, v94, v108
	v_fmac_f32_e32 v95, 0x3f167918, v126
	v_fmac_f32_e32 v96, 0xbf167918, v128
	v_add_f32_e32 v93, v93, v119
	ds_write_b64 v154, v[20:21] offset:10560
	v_add_co_u32 v20, s0, 0x800, v88
	v_add_co_ci_u32_e64 v21, s0, 0, v89, s0
	v_add_f32_e32 v94, v94, v120
	v_fmac_f32_e32 v95, 0x3e9e377a, v99
	v_fmac_f32_e32 v96, 0x3e9e377a, v100
	v_add_co_u32 v88, s0, 0x840, v88
	v_add_co_ci_u32_e64 v89, s0, 0, v89, s0
	v_add_co_u32 v92, s0, s2, v90
	ds_write2_b64 v130, v[93:94], v[95:96] offset0:76 offset1:131
	v_add_co_ci_u32_e64 v93, null, s3, 0, s0
	v_add_co_u32 v90, s0, 0x800, v92
	s_waitcnt lgkmcnt(0)
	s_waitcnt_vscnt null, 0x0
	v_add_co_ci_u32_e64 v91, s0, 0, v93, s0
	v_add_co_u32 v92, s0, 0x840, v92
	s_barrier
	buffer_gl0_inv
	s_clause 0x1
	global_load_dwordx4 v[100:103], v[20:21], off offset:64
	global_load_dwordx4 v[96:99], v[88:89], off offset:16
	v_add_co_ci_u32_e64 v93, s0, 0, v93, s0
	ds_read2_b64 v[104:107], v146 offset0:38 offset1:93
	s_clause 0x1
	global_load_dwordx4 v[88:91], v[90:91], off offset:64
	global_load_dwordx4 v[92:95], v[92:93], off offset:16
	ds_read2_b64 v[110:113], v143 offset0:74 offset1:129
	s_waitcnt vmcnt(3) lgkmcnt(1)
	v_mul_f32_e32 v20, v105, v103
	v_mul_f32_e32 v117, v104, v103
	v_fma_f32 v118, v104, v102, -v20
	s_waitcnt vmcnt(1)
	v_mul_f32_e32 v20, v107, v91
	v_mul_f32_e32 v138, v106, v91
	v_fmac_f32_e32 v117, v105, v102
	s_waitcnt lgkmcnt(0)
	v_mul_f32_e32 v148, v110, v89
	v_fma_f32 v139, v106, v90, -v20
	v_fmac_f32_e32 v138, v107, v90
	ds_read2_b64 v[104:107], v162 offset0:76 offset1:131
	v_fmac_f32_e32 v148, v111, v88
	s_waitcnt lgkmcnt(0)
	v_mul_f32_e32 v20, v105, v99
	v_mul_f32_e32 v119, v104, v99
	s_waitcnt vmcnt(0)
	v_mul_f32_e32 v144, v106, v95
	v_fma_f32 v120, v104, v98, -v20
	v_mul_f32_e32 v20, v107, v95
	v_fmac_f32_e32 v119, v105, v98
	v_fmac_f32_e32 v144, v107, v94
	v_fma_f32 v145, v106, v94, -v20
	v_lshlrev_b32_e32 v20, 5, v114
	v_mul_f32_e32 v106, v111, v89
	v_sub_f32_e32 v185, v148, v144
	v_add_co_u32 v104, s0, s2, v20
	v_add_co_ci_u32_e64 v105, null, s3, 0, s0
	v_fma_f32 v149, v110, v88, -v106
	v_add_co_u32 v20, s0, 0x800, v104
	v_add_co_ci_u32_e64 v21, s0, 0, v105, s0
	v_add_co_u32 v104, s0, 0x840, v104
	v_add_co_ci_u32_e64 v105, s0, 0, v105, s0
	s_clause 0x1
	global_load_dwordx4 v[108:111], v[20:21], off offset:64
	global_load_dwordx4 v[104:107], v[104:105], off offset:16
	ds_read2_b64 v[128:131], v142 offset0:92 offset1:147
	ds_read2_b64 v[132:135], v147 offset0:2 offset1:57
	v_sub_f32_e32 v186, v149, v145
	s_waitcnt vmcnt(1)
	v_mul_f32_e32 v20, v113, v109
	v_mul_f32_e32 v136, v112, v109
	v_fma_f32 v137, v112, v108, -v20
	v_fmac_f32_e32 v136, v113, v108
	ds_read2_b64 v[112:115], v147 offset0:112 offset1:167
	s_waitcnt lgkmcnt(0)
	v_mul_f32_e32 v20, v113, v93
	v_mul_f32_e32 v150, v112, v93
	s_waitcnt vmcnt(0)
	v_mul_f32_e32 v141, v114, v105
	v_fma_f32 v151, v112, v92, -v20
	v_mul_f32_e32 v20, v115, v105
	v_fmac_f32_e32 v150, v113, v92
	v_fmac_f32_e32 v141, v115, v104
	v_sub_f32_e32 v183, v139, v151
	v_fma_f32 v140, v114, v104, -v20
	v_mul_f32_e32 v20, v131, v101
	ds_read2_b64 v[112:115], v235 offset1:55
	v_sub_f32_e32 v182, v138, v150
	v_fma_f32 v121, v130, v100, -v20
	v_mul_f32_e32 v20, v135, v97
	v_mul_f32_e32 v130, v130, v101
	v_add_f32_e32 v154, v121, v120
	v_fma_f32 v122, v134, v96, -v20
	v_mul_f32_e32 v134, v134, v97
	v_sub_f32_e32 v20, v121, v118
	v_fmac_f32_e32 v130, v131, v100
	v_sub_f32_e32 v21, v120, v122
	v_fmac_f32_e32 v134, v135, v96
	v_sub_f32_e32 v135, v121, v120
	v_sub_f32_e32 v125, v130, v117
	;; [unrolled: 1-line block ×3, first 2 shown]
	v_add_f32_e32 v123, v20, v21
	v_add_f32_e32 v20, v118, v122
	v_add_f32_e32 v21, v117, v134
	v_sub_f32_e32 v126, v119, v134
	v_sub_f32_e32 v152, v117, v134
	;; [unrolled: 1-line block ×3, first 2 shown]
	s_waitcnt lgkmcnt(0)
	v_fma_f32 v20, -0.5, v20, v112
	v_fma_f32 v21, -0.5, v21, v113
	v_add_f32_e32 v125, v125, v126
	v_fmamk_f32 v126, v131, 0x3f737871, v20
	v_fmamk_f32 v127, v135, 0xbf737871, v21
	v_fmac_f32_e32 v20, 0xbf737871, v131
	v_fmac_f32_e32 v21, 0x3f737871, v135
	;; [unrolled: 1-line block ×10, first 2 shown]
	ds_write_b64 v235, v[126:127] offset:2200
	v_add_f32_e32 v126, v112, v121
	v_add_f32_e32 v127, v113, v130
	v_fma_f32 v112, -0.5, v154, v112
	ds_write_b64 v235, v[20:21] offset:8800
	v_add_f32_e32 v20, v114, v149
	v_add_f32_e32 v126, v126, v118
	;; [unrolled: 1-line block ×3, first 2 shown]
	v_sub_f32_e32 v118, v118, v121
	v_sub_f32_e32 v117, v117, v130
	v_add_f32_e32 v21, v115, v148
	v_add_f32_e32 v126, v126, v122
	;; [unrolled: 1-line block ×3, first 2 shown]
	v_sub_f32_e32 v122, v122, v120
	v_add_f32_e32 v20, v20, v139
	v_add_f32_e32 v21, v21, v138
	;; [unrolled: 1-line block ×5, first 2 shown]
	v_sub_f32_e32 v119, v134, v119
	v_add_f32_e32 v122, v118, v122
	v_add_f32_e32 v20, v20, v151
	v_fma_f32 v113, -0.5, v126, v113
	v_add_f32_e32 v21, v21, v150
	v_add_f32_e32 v119, v117, v119
	v_fmamk_f32 v117, v152, 0xbf737871, v112
	v_fmac_f32_e32 v112, 0x3f737871, v152
	v_fmamk_f32 v118, v153, 0x3f737871, v113
	v_fmac_f32_e32 v113, 0xbf737871, v153
	v_add_f32_e32 v20, v20, v145
	v_fmac_f32_e32 v117, 0x3f167918, v131
	v_fmac_f32_e32 v112, 0xbf167918, v131
	;; [unrolled: 1-line block ×4, first 2 shown]
	v_add_f32_e32 v21, v21, v144
	v_fmac_f32_e32 v117, 0x3e9e377a, v122
	v_fmac_f32_e32 v112, 0x3e9e377a, v122
	;; [unrolled: 1-line block ×4, first 2 shown]
	ds_write_b64 v235, v[117:118] offset:4400
	ds_write_b64 v235, v[112:113] offset:6600
	ds_read_b64 v[130:131], v235 offset:10560
	ds_read2_b64 v[152:155], v146 offset0:148 offset1:203
	ds_read2_b64 v[156:159], v162 offset0:186 offset1:241
	;; [unrolled: 1-line block ×5, first 2 shown]
	ds_write2_b64 v235, v[120:121], v[20:21] offset1:55
	v_add_f32_e32 v20, v139, v151
	v_add_f32_e32 v21, v149, v145
	v_sub_f32_e32 v112, v151, v145
	v_sub_f32_e32 v113, v150, v144
	v_fma_f32 v20, -0.5, v20, v114
	v_fma_f32 v114, -0.5, v21, v114
	v_sub_f32_e32 v21, v139, v149
	v_fmamk_f32 v134, v182, 0xbf737871, v114
	v_add_f32_e32 v160, v21, v112
	v_add_f32_e32 v21, v138, v150
	v_add_f32_e32 v112, v148, v144
	v_fmac_f32_e32 v114, 0x3f737871, v182
	v_fmac_f32_e32 v134, 0x3f167918, v185
	v_fma_f32 v21, -0.5, v21, v115
	v_fmac_f32_e32 v115, -0.5, v112
	v_sub_f32_e32 v112, v138, v148
	v_fmac_f32_e32 v114, 0xbf167918, v185
	v_sub_f32_e32 v138, v148, v138
	v_fmac_f32_e32 v134, 0x3e9e377a, v160
	v_fmamk_f32 v135, v183, 0x3f737871, v115
	v_add_f32_e32 v161, v112, v113
	s_waitcnt lgkmcnt(5)
	v_mul_f32_e32 v112, v153, v111
	v_fmac_f32_e32 v115, 0xbf737871, v183
	v_fmac_f32_e32 v114, 0x3e9e377a, v160
	;; [unrolled: 1-line block ×3, first 2 shown]
	v_fma_f32 v176, v152, v110, -v112
	s_waitcnt lgkmcnt(4)
	v_mul_f32_e32 v112, v157, v107
	v_fmac_f32_e32 v115, 0x3f167918, v186
	v_fmac_f32_e32 v135, 0x3e9e377a, v161
	v_sub_f32_e32 v188, v176, v140
	v_fma_f32 v177, v156, v106, -v112
	v_mul_f32_e32 v156, v156, v107
	v_sub_f32_e32 v112, v176, v137
	v_fmac_f32_e32 v115, 0x3e9e377a, v161
	v_sub_f32_e32 v113, v140, v177
	v_fmac_f32_e32 v156, v157, v106
	v_mul_f32_e32 v157, v152, v111
	v_sub_f32_e32 v189, v137, v177
	v_add_f32_e32 v180, v112, v113
	v_add_f32_e32 v112, v137, v177
	;; [unrolled: 1-line block ×3, first 2 shown]
	v_fmac_f32_e32 v157, v153, v110
	v_sub_f32_e32 v118, v141, v156
	v_sub_f32_e32 v187, v136, v156
	s_waitcnt lgkmcnt(1)
	v_fma_f32 v112, -0.5, v112, v172
	v_fma_f32 v113, -0.5, v113, v173
	v_sub_f32_e32 v184, v157, v141
	v_sub_f32_e32 v117, v157, v136
	v_fmamk_f32 v153, v188, 0x3f737871, v113
	v_fmamk_f32 v152, v184, 0xbf737871, v112
	v_fmac_f32_e32 v112, 0x3f737871, v184
	v_fmac_f32_e32 v113, 0xbf737871, v188
	v_add_f32_e32 v181, v117, v118
	v_fmac_f32_e32 v153, 0xbf167918, v189
	v_fmac_f32_e32 v152, 0x3f167918, v187
	;; [unrolled: 1-line block ×8, first 2 shown]
	ds_write2_b64 v147, v[114:115], v[112:113] offset0:112 offset1:167
	v_lshlrev_b32_e32 v112, 5, v116
	v_add_co_u32 v114, s0, s2, v112
	v_add_co_ci_u32_e64 v115, null, s3, 0, s0
	v_add_co_u32 v112, s0, 0x800, v114
	v_add_co_ci_u32_e64 v113, s0, 0, v115, s0
	v_add_co_u32 v114, s0, 0x840, v114
	v_add_co_ci_u32_e64 v115, s0, 0, v115, s0
	s_clause 0x1
	global_load_dwordx4 v[120:123], v[112:113], off offset:64
	global_load_dwordx4 v[116:119], v[114:115], off offset:16
	s_waitcnt vmcnt(1)
	v_mul_f32_e32 v112, v155, v123
	v_fma_f32 v236, v154, v122, -v112
	v_mul_f32_e32 v154, v154, v123
	s_waitcnt vmcnt(0)
	v_mul_f32_e32 v112, v159, v119
	v_fmac_f32_e32 v154, v155, v122
	v_fma_f32 v155, v158, v118, -v112
	v_lshlrev_b32_e32 v112, 5, v124
	v_mul_f32_e32 v158, v158, v119
	v_mul_f32_e32 v124, v165, v121
	v_add_co_u32 v114, s0, s2, v112
	v_add_co_ci_u32_e64 v115, null, s3, 0, s0
	v_fmac_f32_e32 v158, v159, v118
	v_add_co_u32 v112, s0, 0x800, v114
	v_add_co_ci_u32_e64 v113, s0, 0, v115, s0
	v_add_co_u32 v114, s0, 0x840, v114
	v_add_co_ci_u32_e64 v115, s0, 0, v115, s0
	v_fma_f32 v159, v164, v120, -v124
	s_clause 0x1
	global_load_dwordx4 v[124:127], v[112:113], off offset:64
	global_load_dwordx4 v[112:115], v[114:115], off offset:16
	v_mul_f32_e32 v164, v164, v121
	ds_write2_b64 v146, v[134:135], v[152:153] offset0:93 offset1:148
	s_add_u32 s2, s6, 0x2af8
	s_addc_u32 s3, s7, 0
	v_fmac_f32_e32 v164, v165, v120
	s_waitcnt vmcnt(1)
	v_mul_f32_e32 v165, v167, v125
	v_mul_f32_e32 v237, v132, v127
	v_fma_f32 v165, v166, v124, -v165
	v_mul_f32_e32 v166, v166, v125
	v_fmac_f32_e32 v237, v133, v126
	v_fmac_f32_e32 v166, v167, v124
	v_mul_f32_e32 v167, v133, v127
	v_sub_f32_e32 v133, v145, v151
	v_fma_f32 v167, v132, v126, -v167
	v_mul_f32_e32 v132, v169, v117
	v_fma_f32 v238, v168, v116, -v132
	v_mul_f32_e32 v168, v168, v117
	s_waitcnt vmcnt(0)
	v_mul_f32_e32 v132, v171, v113
	v_fmac_f32_e32 v168, v169, v116
	v_fma_f32 v169, v170, v112, -v132
	v_sub_f32_e32 v132, v149, v139
	v_sub_f32_e32 v139, v144, v150
	v_mul_f32_e32 v170, v170, v113
	v_add_f32_e32 v148, v132, v133
	v_sub_f32_e32 v132, v137, v176
	v_sub_f32_e32 v133, v177, v140
	v_add_f32_e32 v149, v138, v139
	v_sub_f32_e32 v138, v136, v157
	v_sub_f32_e32 v139, v156, v141
	v_fmac_f32_e32 v170, v171, v112
	v_add_f32_e32 v150, v132, v133
	v_add_f32_e32 v132, v176, v140
	;; [unrolled: 1-line block ×4, first 2 shown]
	v_fmamk_f32 v138, v185, 0x3f737871, v20
	v_fmamk_f32 v139, v186, 0xbf737871, v21
	v_fma_f32 v132, -0.5, v132, v172
	v_fma_f32 v133, -0.5, v133, v173
	v_fmac_f32_e32 v20, 0xbf737871, v185
	v_fmac_f32_e32 v21, 0x3f737871, v186
	;; [unrolled: 1-line block ×3, first 2 shown]
	v_fmamk_f32 v144, v187, 0x3f737871, v132
	v_fmamk_f32 v145, v189, 0xbf737871, v133
	v_fmac_f32_e32 v132, 0xbf737871, v187
	v_fmac_f32_e32 v133, 0x3f737871, v189
	;; [unrolled: 1-line block ×16, first 2 shown]
	ds_write2_b64 v162, v[20:21], v[132:133] offset0:131 offset1:186
	v_add_f32_e32 v20, v172, v137
	v_add_f32_e32 v21, v173, v136
	;; [unrolled: 1-line block ×4, first 2 shown]
	v_fmac_f32_e32 v145, 0x3e9e377a, v151
	v_add_f32_e32 v20, v20, v176
	v_add_f32_e32 v21, v21, v157
	v_add_f32_e32 v132, v132, v236
	v_add_f32_e32 v133, v133, v154
	ds_write2_b64 v143, v[138:139], v[144:145] offset0:74 offset1:129
	v_add_f32_e32 v20, v20, v140
	v_add_f32_e32 v21, v21, v141
	;; [unrolled: 1-line block ×4, first 2 shown]
	v_mul_f32_e32 v137, v130, v115
	v_add_f32_e32 v20, v20, v177
	v_add_f32_e32 v21, v21, v156
	;; [unrolled: 1-line block ×4, first 2 shown]
	v_fmac_f32_e32 v137, v131, v114
	v_sub_f32_e32 v144, v164, v158
	v_sub_f32_e32 v149, v159, v155
	;; [unrolled: 1-line block ×3, first 2 shown]
	ds_write2_b64 v235, v[20:21], v[132:133] offset0:110 offset1:165
	v_mul_f32_e32 v20, v131, v115
	v_sub_f32_e32 v21, v155, v238
	v_sub_f32_e32 v131, v137, v170
	;; [unrolled: 1-line block ×4, first 2 shown]
	v_fma_f32 v136, v130, v114, -v20
	v_sub_f32_e32 v20, v159, v236
	v_sub_f32_e32 v152, v237, v170
	;; [unrolled: 1-line block ×3, first 2 shown]
	v_add_f32_e32 v148, v164, v158
	v_sub_f32_e32 v130, v136, v169
	v_add_f32_e32 v138, v20, v21
	v_add_f32_e32 v20, v236, v238
	;; [unrolled: 1-line block ×3, first 2 shown]
	v_sub_f32_e32 v153, v165, v136
	v_fma_f32 v132, -0.5, v20, v174
	v_fma_f32 v133, -0.5, v21, v175
	v_sub_f32_e32 v20, v164, v154
	v_sub_f32_e32 v21, v158, v168
	v_fmac_f32_e32 v175, -0.5, v148
	v_add_f32_e32 v139, v20, v21
	v_sub_f32_e32 v21, v165, v167
	v_add_f32_e32 v20, v167, v169
	v_add_f32_e32 v140, v21, v130
	;; [unrolled: 1-line block ×3, first 2 shown]
	v_fma_f32 v20, -0.5, v20, v128
	v_sub_f32_e32 v130, v166, v237
	v_fma_f32 v21, -0.5, v21, v129
	v_fmamk_f32 v134, v151, 0x3f737871, v20
	v_add_f32_e32 v141, v130, v131
	v_fmamk_f32 v130, v144, 0x3f737871, v132
	v_fmamk_f32 v131, v149, 0xbf737871, v133
	;; [unrolled: 1-line block ×3, first 2 shown]
	v_fmac_f32_e32 v134, 0x3f167918, v152
	v_fmac_f32_e32 v132, 0xbf737871, v144
	;; [unrolled: 1-line block ×14, first 2 shown]
	ds_write2_b64 v143, v[130:131], v[134:135] offset0:184 offset1:239
	v_sub_f32_e32 v130, v236, v159
	v_sub_f32_e32 v134, v238, v155
	v_add_f32_e32 v131, v159, v155
	v_sub_f32_e32 v135, v154, v164
	v_sub_f32_e32 v154, v168, v158
	v_add_f32_e32 v158, v129, v166
	v_add_f32_e32 v155, v130, v134
	;; [unrolled: 1-line block ×3, first 2 shown]
	v_fma_f32 v174, -0.5, v131, v174
	v_add_f32_e32 v148, v135, v154
	v_add_f32_e32 v154, v128, v165
	v_sub_f32_e32 v131, v169, v136
	v_fma_f32 v128, -0.5, v130, v128
	v_sub_f32_e32 v130, v167, v165
	v_fmamk_f32 v134, v145, 0xbf737871, v174
	v_fmac_f32_e32 v174, 0x3f737871, v145
	v_fmamk_f32 v135, v150, 0x3f737871, v175
	v_fmac_f32_e32 v175, 0xbf737871, v150
	v_add_f32_e32 v157, v130, v131
	v_add_f32_e32 v130, v166, v137
	v_sub_f32_e32 v131, v170, v137
	v_add_f32_e32 v154, v154, v167
	v_add_f32_e32 v158, v158, v237
	v_fmac_f32_e32 v174, 0xbf167918, v144
	v_fmac_f32_e32 v129, -0.5, v130
	v_sub_f32_e32 v130, v237, v166
	v_fmac_f32_e32 v175, 0x3f167918, v149
	v_add_f32_e32 v154, v154, v169
	v_add_f32_e32 v158, v158, v170
	v_fmac_f32_e32 v134, 0x3f167918, v144
	v_add_f32_e32 v159, v130, v131
	v_fmamk_f32 v130, v152, 0xbf737871, v128
	v_fmac_f32_e32 v128, 0x3f737871, v152
	v_fmamk_f32 v131, v156, 0x3f737871, v129
	v_fmac_f32_e32 v129, 0xbf737871, v156
	v_fmac_f32_e32 v135, 0xbf167918, v149
	v_fmac_f32_e32 v130, 0x3f167918, v151
	v_fmac_f32_e32 v128, 0xbf167918, v151
	v_fmac_f32_e32 v131, 0xbf167918, v153
	v_fmac_f32_e32 v129, 0x3f167918, v153
	v_fmac_f32_e32 v20, 0xbf167918, v152
	v_fmac_f32_e32 v21, 0x3f167918, v156
	v_fmac_f32_e32 v174, 0x3e9e377a, v155
	v_fmac_f32_e32 v175, 0x3e9e377a, v148
	v_fmac_f32_e32 v128, 0x3e9e377a, v157
	v_fmac_f32_e32 v129, 0x3e9e377a, v159
	v_add_f32_e32 v136, v154, v136
	v_add_f32_e32 v137, v158, v137
	v_fmac_f32_e32 v134, 0x3e9e377a, v155
	v_fmac_f32_e32 v135, 0x3e9e377a, v148
	v_fmac_f32_e32 v130, 0x3e9e377a, v157
	v_fmac_f32_e32 v131, 0x3e9e377a, v159
	v_add_nc_u32_e32 v148, 0x1400, v235
	v_fmac_f32_e32 v132, 0x3e9e377a, v138
	v_fmac_f32_e32 v133, 0x3e9e377a, v139
	;; [unrolled: 1-line block ×4, first 2 shown]
	v_add_nc_u32_e32 v164, 0x2400, v235
	ds_write2_b64 v163, v[174:175], v[128:129] offset0:94 offset1:149
	ds_write_b64 v235, v[136:137] offset:1760
	ds_write2_b64 v148, v[134:135], v[130:131] offset0:75 offset1:130
	ds_write2_b64 v164, v[132:133], v[20:21] offset0:113 offset1:168
	s_waitcnt lgkmcnt(0)
	s_barrier
	buffer_gl0_inv
	s_clause 0x3
	global_load_dwordx2 v[136:137], v235, s[2:3]
	global_load_dwordx2 v[138:139], v235, s[2:3] offset:440
	global_load_dwordx2 v[140:141], v235, s[2:3] offset:1000
	global_load_dwordx2 v[144:145], v235, s[2:3] offset:1440
	ds_read2_b64 v[132:135], v235 offset1:55
	s_waitcnt vmcnt(3) lgkmcnt(0)
	v_mul_f32_e32 v149, v133, v137
	v_mul_f32_e32 v150, v132, v137
	s_waitcnt vmcnt(2)
	v_mul_f32_e32 v154, v134, v139
	v_fma_f32 v149, v132, v136, -v149
	v_fmac_f32_e32 v150, v133, v136
	v_mul_f32_e32 v132, v135, v139
	v_fmac_f32_e32 v154, v135, v138
	ds_write_b64 v235, v[149:150]
	v_fma_f32 v153, v134, v138, -v132
	ds_read2_b64 v[132:135], v235 offset0:125 offset1:180
	s_waitcnt vmcnt(1) lgkmcnt(0)
	v_mul_f32_e32 v136, v133, v141
	v_mul_f32_e32 v156, v132, v141
	s_waitcnt vmcnt(0)
	v_mul_f32_e32 v158, v134, v145
	v_fma_f32 v155, v132, v140, -v136
	v_mul_f32_e32 v132, v135, v145
	v_fmac_f32_e32 v158, v135, v144
	v_fmac_f32_e32 v156, v133, v140
	v_fma_f32 v157, v134, v144, -v132
	v_add_co_u32 v134, s0, s2, v235
	v_add_co_ci_u32_e64 v135, null, s3, 0, s0
	v_add_co_u32 v132, s0, 0x800, v134
	v_add_co_ci_u32_e64 v133, s0, 0, v135, s0
	s_clause 0x3
	global_load_dwordx2 v[140:141], v235, s[2:3] offset:2000
	global_load_dwordx2 v[144:145], v[132:133], off offset:392
	global_load_dwordx2 v[149:150], v[132:133], off offset:952
	;; [unrolled: 1-line block ×3, first 2 shown]
	ds_read2_b64 v[136:139], v142 offset0:122 offset1:177
	s_waitcnt vmcnt(3) lgkmcnt(0)
	v_mul_f32_e32 v159, v137, v141
	v_mul_f32_e32 v160, v136, v141
	s_waitcnt vmcnt(2)
	v_mul_f32_e32 v166, v138, v145
	v_fma_f32 v159, v136, v140, -v159
	v_mul_f32_e32 v136, v139, v145
	v_fmac_f32_e32 v160, v137, v140
	v_fmac_f32_e32 v166, v139, v144
	v_fma_f32 v165, v138, v144, -v136
	ds_read2_b64 v[136:139], v143 offset0:119 offset1:174
	v_add_nc_u32_e32 v144, 0xc00, v235
	s_waitcnt vmcnt(1) lgkmcnt(0)
	v_mul_f32_e32 v140, v137, v150
	v_mul_f32_e32 v168, v136, v150
	s_waitcnt vmcnt(0)
	v_mul_f32_e32 v170, v138, v152
	v_fma_f32 v167, v136, v149, -v140
	v_mul_f32_e32 v136, v139, v152
	v_fmac_f32_e32 v168, v137, v149
	v_fmac_f32_e32 v170, v139, v151
	v_fma_f32 v169, v138, v151, -v136
	v_add_co_u32 v136, s0, 0x1000, v134
	v_add_co_ci_u32_e64 v137, s0, 0, v135, s0
	s_clause 0x3
	global_load_dwordx2 v[149:150], v[132:133], off offset:1952
	global_load_dwordx2 v[151:152], v[136:137], off offset:344
	;; [unrolled: 1-line block ×4, first 2 shown]
	ds_read2_b64 v[138:141], v144 offset0:116 offset1:171
	s_waitcnt vmcnt(3) lgkmcnt(0)
	v_mul_f32_e32 v145, v139, v150
	v_mul_f32_e32 v176, v138, v150
	s_waitcnt vmcnt(2)
	v_mul_f32_e32 v250, v140, v152
	v_fma_f32 v175, v138, v149, -v145
	v_mul_f32_e32 v138, v141, v152
	v_fmac_f32_e32 v176, v139, v149
	v_fmac_f32_e32 v250, v141, v151
	v_fma_f32 v249, v140, v151, -v138
	ds_read2_b64 v[138:141], v146 offset0:113 offset1:168
	s_waitcnt vmcnt(1) lgkmcnt(0)
	v_mul_f32_e32 v145, v139, v172
	v_mul_f32_e32 v252, v138, v172
	s_waitcnt vmcnt(0)
	v_mul_f32_e32 v172, v140, v174
	v_fma_f32 v251, v138, v171, -v145
	v_mul_f32_e32 v138, v141, v174
	v_fmac_f32_e32 v252, v139, v171
	v_fmac_f32_e32 v172, v141, v173
	v_fma_f32 v171, v140, v173, -v138
	v_add_co_u32 v138, s0, 0x1800, v134
	v_add_co_ci_u32_e64 v139, s0, 0, v135, s0
	s_clause 0x3
	global_load_dwordx2 v[140:141], v[136:137], off offset:1904
	global_load_dwordx2 v[173:174], v[138:139], off offset:296
	;; [unrolled: 1-line block ×4, first 2 shown]
	ds_read2_b64 v[149:152], v148 offset0:110 offset1:165
	s_waitcnt vmcnt(3) lgkmcnt(0)
	v_mul_f32_e32 v145, v150, v141
	v_mul_f32_e32 v239, v149, v141
	s_waitcnt vmcnt(2)
	v_mul_f32_e32 v244, v151, v174
	v_fma_f32 v238, v149, v140, -v145
	v_fmac_f32_e32 v239, v150, v140
	v_mul_f32_e32 v140, v152, v174
	v_fmac_f32_e32 v244, v152, v173
	v_fma_f32 v243, v151, v173, -v140
	ds_read2_b64 v[149:152], v147 offset0:107 offset1:162
	s_waitcnt vmcnt(1) lgkmcnt(0)
	v_mul_f32_e32 v140, v150, v254
	v_mul_f32_e32 v174, v149, v254
	s_waitcnt vmcnt(0)
	v_mul_f32_e32 v254, v151, v247
	v_fma_f32 v173, v149, v253, -v140
	v_mul_f32_e32 v140, v152, v247
	v_fmac_f32_e32 v174, v150, v253
	v_fmac_f32_e32 v254, v152, v246
	v_fma_f32 v253, v151, v246, -v140
	v_add_co_u32 v140, s0, 0x2000, v134
	v_add_co_ci_u32_e64 v141, s0, 0, v135, s0
	s_clause 0x3
	global_load_dwordx2 v[246:247], v[138:139], off offset:1856
	global_load_dwordx2 v[236:237], v[140:141], off offset:248
	;; [unrolled: 1-line block ×4, first 2 shown]
	ds_read2_b64 v[149:152], v163 offset0:104 offset1:159
	s_waitcnt vmcnt(3) lgkmcnt(0)
	v_mul_f32_e32 v145, v150, v247
	v_mul_f32_e32 v185, v149, v247
	s_waitcnt vmcnt(2)
	v_mul_f32_e32 v247, v151, v237
	v_fma_f32 v184, v149, v246, -v145
	v_mul_f32_e32 v145, v152, v237
	v_fmac_f32_e32 v185, v150, v246
	v_fmac_f32_e32 v247, v152, v236
	v_fma_f32 v246, v151, v236, -v145
	ds_read2_b64 v[149:152], v162 offset0:101 offset1:156
	s_waitcnt vmcnt(1) lgkmcnt(0)
	v_mul_f32_e32 v145, v150, v181
	v_mul_f32_e32 v237, v149, v181
	s_waitcnt vmcnt(0)
	v_mul_f32_e32 v181, v151, v183
	v_fma_f32 v236, v149, v180, -v145
	v_add_co_u32 v149, s0, 0x2800, v134
	v_fmac_f32_e32 v237, v150, v180
	v_mul_f32_e32 v145, v152, v183
	v_add_co_ci_u32_e64 v150, s0, 0, v135, s0
	v_fmac_f32_e32 v181, v152, v182
	v_fma_f32 v180, v151, v182, -v145
	s_clause 0x1
	global_load_dwordx2 v[182:183], v[149:150], off offset:200
	global_load_dwordx2 v[186:187], v[140:141], off offset:1808
	ds_read2_b64 v[149:152], v164 offset0:98 offset1:153
	s_waitcnt vmcnt(0) lgkmcnt(0)
	v_mul_f32_e32 v145, v150, v187
	v_mul_f32_e32 v189, v149, v187
	v_fma_f32 v188, v149, v186, -v145
	v_fmac_f32_e32 v189, v150, v186
	v_mul_f32_e32 v145, v152, v183
	v_mul_f32_e32 v150, v151, v183
	v_fma_f32 v149, v151, v182, -v145
	v_fmac_f32_e32 v150, v152, v182
	ds_write2_b64 v235, v[153:154], v[155:156] offset0:55 offset1:125
	ds_write2_b64 v235, v[157:158], v[159:160] offset0:180 offset1:250
	;; [unrolled: 1-line block ×10, first 2 shown]
	ds_write_b64 v235, v[149:150] offset:10440
	s_and_saveexec_b32 s0, vcc_lo
	s_cbranch_execz .LBB0_9
; %bb.8:
	s_clause 0x7
	global_load_dwordx2 v[149:150], v[134:135], off offset:880
	global_load_dwordx2 v[151:152], v[134:135], off offset:1880
	;; [unrolled: 1-line block ×8, first 2 shown]
	buffer_load_dword v132, off, s[20:23], 0 ; 4-byte Folded Reload
	s_waitcnt vmcnt(0)
	v_lshl_or_b32 v132, v132, 3, 0x2a80
	s_clause 0x2
	global_load_dwordx2 v[173:174], v[140:141], off offset:688
	global_load_dwordx2 v[140:141], v[140:141], off offset:1688
	global_load_dwordx2 v[175:176], v132, s[2:3]
	ds_read2_b64 v[132:135], v235 offset0:110 offset1:235
	s_waitcnt lgkmcnt(0)
	v_mul_f32_e32 v136, v133, v150
	v_mul_f32_e32 v137, v132, v150
	;; [unrolled: 1-line block ×4, first 2 shown]
	v_fma_f32 v136, v132, v149, -v136
	v_fmac_f32_e32 v137, v133, v149
	v_fma_f32 v138, v134, v151, -v138
	v_fmac_f32_e32 v139, v135, v151
	ds_write2_b64 v235, v[136:137], v[138:139] offset0:110 offset1:235
	ds_read2_b64 v[132:135], v143 offset0:104 offset1:229
	ds_read2_b64 v[136:139], v146 offset0:98 offset1:223
	ds_read2_b64 v[149:152], v147 offset0:92 offset1:217
	ds_read2_b64 v[153:156], v162 offset0:86 offset1:211
	ds_read_b64 v[180:181], v235 offset:10880
	s_waitcnt lgkmcnt(4)
	v_mul_f32_e32 v145, v133, v158
	v_mul_f32_e32 v161, v132, v158
	v_mul_f32_e32 v182, v135, v160
	v_mul_f32_e32 v158, v134, v160
	s_waitcnt lgkmcnt(3)
	v_mul_f32_e32 v183, v137, v166
	v_mul_f32_e32 v177, v136, v166
	v_mul_f32_e32 v184, v139, v168
	v_mul_f32_e32 v166, v138, v168
	;; [unrolled: 5-line block ×3, first 2 shown]
	v_fma_f32 v160, v132, v157, -v145
	v_fmac_f32_e32 v161, v133, v157
	v_fma_f32 v157, v134, v159, -v182
	v_fmac_f32_e32 v158, v135, v159
	v_fmac_f32_e32 v177, v137, v165
	;; [unrolled: 1-line block ×5, first 2 shown]
	s_waitcnt vmcnt(2) lgkmcnt(1)
	v_mul_f32_e32 v187, v154, v174
	v_mul_f32_e32 v172, v153, v174
	s_waitcnt vmcnt(1)
	v_mul_f32_e32 v188, v156, v141
	v_mul_f32_e32 v174, v155, v141
	s_waitcnt vmcnt(0) lgkmcnt(0)
	v_mul_f32_e32 v189, v181, v176
	v_mul_f32_e32 v141, v180, v176
	v_fma_f32 v176, v136, v165, -v183
	v_fma_f32 v165, v138, v167, -v184
	;; [unrolled: 1-line block ×5, first 2 shown]
	v_fmac_f32_e32 v172, v154, v173
	v_fma_f32 v173, v155, v140, -v188
	v_fmac_f32_e32 v174, v156, v140
	v_fma_f32 v140, v180, v175, -v189
	v_fmac_f32_e32 v141, v181, v175
	ds_write2_b64 v143, v[160:161], v[157:158] offset0:104 offset1:229
	ds_write2_b64 v146, v[176:177], v[165:166] offset0:98 offset1:223
	ds_write2_b64 v147, v[167:168], v[169:170] offset0:92 offset1:217
	ds_write2_b64 v162, v[171:172], v[173:174] offset0:86 offset1:211
	ds_write_b64 v235, v[140:141] offset:10880
.LBB0_9:
	s_or_b32 exec_lo, exec_lo, s0
	s_waitcnt lgkmcnt(0)
	s_barrier
	buffer_gl0_inv
	ds_read2_b64 v[150:153], v235 offset1:55
	ds_read2_b64 v[154:157], v235 offset0:125 offset1:180
	ds_read2_b64 v[158:161], v142 offset0:122 offset1:177
	;; [unrolled: 1-line block ×10, first 2 shown]
	s_and_saveexec_b32 s0, vcc_lo
	s_cbranch_execz .LBB0_11
; %bb.10:
	v_add_nc_u32_e32 v0, 0x800, v235
	v_add_nc_u32_e32 v1, 0x1000, v235
	v_add_nc_u32_e32 v2, 0x1800, v235
	ds_read2_b64 v[130:133], v235 offset0:110 offset1:235
	v_add_nc_u32_e32 v3, 0x2000, v235
	ds_read2_b64 v[20:23], v0 offset0:104 offset1:229
	ds_read2_b64 v[8:11], v1 offset0:98 offset1:223
	;; [unrolled: 1-line block ×3, first 2 shown]
	ds_read_b64 v[233:234], v235 offset:10880
	ds_read2_b64 v[0:3], v3 offset0:86 offset1:211
	s_waitcnt lgkmcnt(5)
	v_mov_b32_e32 v128, v132
	v_mov_b32_e32 v129, v133
.LBB0_11:
	s_or_b32 exec_lo, exec_lo, s0
	s_waitcnt lgkmcnt(9)
	v_add_f32_e32 v133, v151, v155
	v_add_f32_e32 v132, v150, v154
	;; [unrolled: 1-line block ×4, first 2 shown]
	s_waitcnt lgkmcnt(0)
	v_sub_f32_e32 v253, v155, v163
	v_add_f32_e32 v133, v133, v159
	v_add_f32_e32 v132, v132, v158
	v_add_f32_e32 v180, v180, v160
	v_add_f32_e32 v181, v181, v161
	v_add_f32_e32 v251, v162, v154
	v_add_f32_e32 v133, v133, v171
	v_add_f32_e32 v254, v163, v155
	v_sub_f32_e32 v252, v154, v162
	v_mul_f32_e32 v154, 0xbf0a6770, v253
	v_add_f32_e32 v155, v132, v170
	v_add_f32_e32 v133, v133, v143
	;; [unrolled: 1-line block ×4, first 2 shown]
	v_fmamk_f32 v184, v251, 0x3f575c64, v154
	v_add_f32_e32 v155, v155, v142
	v_add_f32_e32 v133, v133, v135
	v_fma_f32 v186, 0x3f575c64, v251, -v154
	v_add_f32_e32 v154, v180, v144
	v_add_f32_e32 v180, v181, v145
	;; [unrolled: 1-line block ×4, first 2 shown]
	v_sub_f32_e32 v238, v171, v175
	v_add_f32_e32 v154, v154, v136
	v_add_f32_e32 v180, v180, v137
	;; [unrolled: 1-line block ×13, first 2 shown]
	v_sub_f32_e32 v174, v170, v174
	v_add_f32_e32 v170, v176, v172
	v_sub_f32_e32 v171, v172, v176
	v_sub_f32_e32 v172, v159, v167
	v_add_f32_e32 v187, v167, v159
	v_add_f32_e32 v159, v154, v176
	;; [unrolled: 1-line block ×4, first 2 shown]
	v_mul_f32_e32 v132, 0xbf68dda4, v253
	v_add_f32_e32 v154, v155, v166
	v_mul_f32_e32 v249, 0x3f575c64, v254
	v_mul_f32_e32 v182, 0xbf7d64f0, v253
	v_add_f32_e32 v155, v133, v163
	v_add_f32_e32 v133, v176, v169
	v_sub_f32_e32 v255, v173, v177
	v_add_f32_e32 v173, v177, v173
	v_add_f32_e32 v181, v166, v158
	v_sub_f32_e32 v177, v158, v166
	v_sub_f32_e32 v180, v161, v169
	v_add_f32_e32 v188, v169, v161
	v_fmamk_f32 v158, v251, 0x3ed4b147, v132
	v_fma_f32 v161, 0x3ed4b147, v251, -v132
	v_add_f32_e32 v132, v159, v168
	v_mul_f32_e32 v159, 0xbf4178ce, v253
	v_sub_f32_e32 v163, v157, v165
	v_add_f32_e32 v157, v165, v157
	v_add_f32_e32 v133, v133, v165
	v_mul_f32_e32 v165, 0xbe903f40, v253
	v_mul_f32_e32 v250, 0x3ed4b147, v254
	;; [unrolled: 1-line block ×3, first 2 shown]
	v_fmamk_f32 v185, v252, 0x3f0a6770, v249
	v_add_f32_e32 v189, v168, v160
	v_sub_f32_e32 v237, v160, v168
	v_add_f32_e32 v154, v154, v162
	v_fmamk_f32 v162, v251, 0xbe11bafb, v182
	v_add_f32_e32 v166, v164, v156
	v_sub_f32_e32 v156, v156, v164
	v_fma_f32 v168, 0xbe11bafb, v251, -v182
	v_mul_f32_e32 v169, 0xbf27a4f4, v254
	v_add_f32_e32 v132, v132, v164
	v_fmamk_f32 v164, v251, 0xbf27a4f4, v159
	v_mul_f32_e32 v182, 0xbf75a155, v254
	v_fma_f32 v159, 0xbf27a4f4, v251, -v159
	v_fmamk_f32 v239, v251, 0xbf75a155, v165
	v_mul_f32_e32 v243, 0xbf0a6770, v163
	v_fma_f32 v165, 0xbf75a155, v251, -v165
	v_mul_f32_e32 v244, 0xbf68dda4, v163
	v_mul_f32_e32 v251, 0xbf7d64f0, v163
	;; [unrolled: 1-line block ×9, first 2 shown]
	v_fmac_f32_e32 v249, 0xbf0a6770, v252
	v_fmamk_f32 v160, v252, 0x3f68dda4, v250
	v_fmac_f32_e32 v250, 0xbf68dda4, v252
	v_fmamk_f32 v167, v252, 0x3f7d64f0, v183
	v_fmac_f32_e32 v183, 0xbf7d64f0, v252
	v_fmamk_f32 v176, v252, 0x3f4178ce, v169
	v_fmac_f32_e32 v169, 0xbf4178ce, v252
	v_fmamk_f32 v246, v252, 0x3e903f40, v182
	v_fmac_f32_e32 v182, 0xbe903f40, v252
	v_fmamk_f32 v247, v166, 0x3f575c64, v243
	v_fma_f32 v243, 0x3f575c64, v166, -v243
	v_fmamk_f32 v252, v166, 0x3ed4b147, v244
	v_fma_f32 v244, 0x3ed4b147, v166, -v244
	v_fmamk_f32 v254, v166, 0xbe11bafb, v251
	;; [unrolled: 2-line block ×5, first 2 shown]
	v_fmac_f32_e32 v218, 0xbf0a6770, v156
	v_fmamk_f32 v190, v156, 0x3f68dda4, v240
	v_fmac_f32_e32 v240, 0xbf68dda4, v156
	v_fmamk_f32 v193, v156, 0x3f7d64f0, v191
	;; [unrolled: 2-line block ×4, first 2 shown]
	v_fmac_f32_e32 v157, 0xbe903f40, v156
	v_add_f32_e32 v156, v150, v184
	v_add_f32_e32 v184, v151, v185
	;; [unrolled: 1-line block ×11, first 2 shown]
	v_mul_f32_e32 v150, 0xbf68dda4, v172
	v_add_f32_e32 v186, v151, v249
	v_add_f32_e32 v160, v151, v160
	;; [unrolled: 1-line block ×9, first 2 shown]
	v_fmamk_f32 v151, v181, 0x3ed4b147, v150
	v_add_f32_e32 v247, v152, v247
	v_add_f32_e32 v243, v152, v243
	;; [unrolled: 1-line block ×5, first 2 shown]
	v_mul_f32_e32 v156, 0xbf7d64f0, v238
	v_add_f32_e32 v252, v152, v254
	v_add_f32_e32 v251, v152, v251
	;; [unrolled: 1-line block ×7, first 2 shown]
	v_mul_f32_e32 v152, 0x3ed4b147, v187
	v_fmamk_f32 v157, v175, 0xbe11bafb, v156
	v_add_f32_e32 v166, v153, v166
	v_add_f32_e32 v218, v153, v218
	;; [unrolled: 1-line block ×9, first 2 shown]
	v_fmamk_f32 v153, v177, 0x3f68dda4, v152
	v_add_f32_e32 v151, v157, v151
	v_mul_f32_e32 v157, 0xbe11bafb, v236
	v_sub_f32_e32 v199, v142, v146
	v_add_f32_e32 v202, v139, v135
	v_add_f32_e32 v153, v153, v184
	;; [unrolled: 1-line block ×3, first 2 shown]
	v_fmamk_f32 v163, v174, 0x3f7d64f0, v157
	v_sub_f32_e32 v200, v135, v139
	v_sub_f32_e32 v203, v134, v138
	v_mul_f32_e32 v135, 0xbf75a155, v202
	v_fmac_f32_e32 v152, 0xbf68dda4, v177
	v_add_f32_e32 v153, v163, v153
	v_sub_f32_e32 v163, v143, v147
	v_add_f32_e32 v201, v138, v134
	v_fmamk_f32 v134, v203, 0x3e903f40, v135
	v_add_f32_e32 v138, v152, v186
	v_fmac_f32_e32 v157, 0xbf7d64f0, v174
	v_mul_f32_e32 v197, 0xbf4178ce, v163
	v_fma_f32 v139, 0xbe11bafb, v175, -v156
	v_fmac_f32_e32 v135, 0xbe903f40, v203
	v_add_f32_e32 v138, v157, v138
	v_fmamk_f32 v198, v184, 0xbf27a4f4, v197
	s_barrier
	buffer_gl0_inv
	v_add_f32_e32 v151, v198, v151
	v_add_f32_e32 v198, v147, v143
	v_mul_f32_e32 v147, 0xbe903f40, v200
	v_mul_f32_e32 v146, 0xbf27a4f4, v198
	v_fmamk_f32 v142, v199, 0x3f4178ce, v146
	v_fmac_f32_e32 v146, 0xbf4178ce, v199
	v_add_f32_e32 v143, v142, v153
	v_add_f32_e32 v138, v146, v138
	v_mul_f32_e32 v146, 0xbf4178ce, v172
	v_fmamk_f32 v142, v201, 0xbf75a155, v147
	v_add_f32_e32 v143, v134, v143
	v_fma_f32 v134, 0x3ed4b147, v181, -v150
	v_add_f32_e32 v135, v135, v138
	v_fmamk_f32 v138, v181, 0xbf27a4f4, v146
	v_mul_f32_e32 v150, 0x3e903f40, v238
	v_add_f32_e32 v142, v142, v151
	v_add_f32_e32 v134, v134, v185
	v_fma_f32 v146, 0xbf27a4f4, v181, -v146
	v_add_f32_e32 v138, v138, v158
	v_fmamk_f32 v151, v175, 0xbf75a155, v150
	v_fma_f32 v150, 0xbf75a155, v175, -v150
	v_add_f32_e32 v134, v139, v134
	v_fma_f32 v139, 0xbf27a4f4, v184, -v197
	v_add_f32_e32 v146, v146, v161
	v_add_f32_e32 v138, v151, v138
	v_mul_f32_e32 v151, 0xbf75a155, v236
	v_add_f32_e32 v134, v139, v134
	v_fma_f32 v139, 0xbf75a155, v201, -v147
	v_mul_f32_e32 v147, 0xbf27a4f4, v187
	v_fmamk_f32 v152, v174, 0xbe903f40, v151
	v_add_f32_e32 v146, v150, v146
	v_fmac_f32_e32 v151, 0x3e903f40, v174
	v_add_f32_e32 v134, v139, v134
	v_fmamk_f32 v139, v177, 0x3f4178ce, v147
	v_fmac_f32_e32 v147, 0xbf4178ce, v177
	v_add_f32_e32 v139, v139, v160
	v_add_f32_e32 v147, v147, v249
	;; [unrolled: 1-line block ×3, first 2 shown]
	v_mul_f32_e32 v152, 0x3f7d64f0, v163
	v_add_f32_e32 v147, v151, v147
	v_fmamk_f32 v153, v184, 0xbe11bafb, v152
	v_fma_f32 v150, 0xbe11bafb, v184, -v152
	v_mul_f32_e32 v152, 0x3e903f40, v172
	v_add_f32_e32 v138, v153, v138
	v_mul_f32_e32 v153, 0xbe11bafb, v198
	v_add_f32_e32 v146, v150, v146
	v_fmamk_f32 v156, v199, 0xbf7d64f0, v153
	v_fmac_f32_e32 v153, 0x3f7d64f0, v199
	v_add_f32_e32 v139, v156, v139
	v_mul_f32_e32 v156, 0x3f0a6770, v200
	v_add_f32_e32 v147, v153, v147
	v_mul_f32_e32 v153, 0xbf75a155, v187
	v_fmamk_f32 v157, v201, 0x3f575c64, v156
	v_fma_f32 v150, 0x3f575c64, v201, -v156
	v_mul_f32_e32 v156, 0x3f68dda4, v238
	v_fmamk_f32 v151, v177, 0xbe903f40, v153
	v_fmac_f32_e32 v153, 0x3e903f40, v177
	v_add_f32_e32 v138, v157, v138
	v_mul_f32_e32 v157, 0x3f575c64, v202
	v_add_f32_e32 v146, v150, v146
	v_fmamk_f32 v150, v181, 0xbf75a155, v152
	v_add_f32_e32 v151, v151, v167
	v_fma_f32 v152, 0xbf75a155, v181, -v152
	v_fmamk_f32 v158, v203, 0xbf0a6770, v157
	v_fmac_f32_e32 v157, 0x3f0a6770, v203
	v_add_f32_e32 v150, v150, v162
	v_add_f32_e32 v153, v153, v183
	;; [unrolled: 1-line block ×5, first 2 shown]
	v_fmamk_f32 v157, v175, 0x3ed4b147, v156
	v_fma_f32 v156, 0x3ed4b147, v175, -v156
	v_add_f32_e32 v150, v157, v150
	v_mul_f32_e32 v157, 0x3ed4b147, v236
	v_add_f32_e32 v152, v156, v152
	v_fmamk_f32 v158, v174, 0xbf68dda4, v157
	v_fmac_f32_e32 v157, 0x3f68dda4, v174
	v_add_f32_e32 v151, v158, v151
	v_mul_f32_e32 v158, 0xbf0a6770, v163
	v_add_f32_e32 v153, v157, v153
	v_fmamk_f32 v160, v184, 0x3f575c64, v158
	v_fma_f32 v156, 0x3f575c64, v184, -v158
	v_mul_f32_e32 v158, 0x3f7d64f0, v172
	v_add_f32_e32 v150, v160, v150
	v_mul_f32_e32 v160, 0x3f575c64, v198
	v_add_f32_e32 v152, v156, v152
	v_fmamk_f32 v161, v199, 0x3f0a6770, v160
	v_fmac_f32_e32 v160, 0xbf0a6770, v199
	v_add_f32_e32 v151, v161, v151
	v_mul_f32_e32 v161, 0xbf4178ce, v200
	v_add_f32_e32 v153, v160, v153
	v_mul_f32_e32 v160, 0xbe11bafb, v187
	v_fmamk_f32 v162, v201, 0xbf27a4f4, v161
	v_fma_f32 v156, 0xbf27a4f4, v201, -v161
	v_mul_f32_e32 v161, 0xbf0a6770, v238
	v_fmamk_f32 v157, v177, 0xbf7d64f0, v160
	v_fmac_f32_e32 v160, 0x3f7d64f0, v177
	v_add_f32_e32 v150, v162, v150
	v_mul_f32_e32 v162, 0xbf27a4f4, v202
	v_add_f32_e32 v152, v156, v152
	v_fmamk_f32 v156, v181, 0xbe11bafb, v158
	v_add_f32_e32 v157, v157, v176
	v_fma_f32 v158, 0xbe11bafb, v181, -v158
	v_fmamk_f32 v167, v203, 0x3f4178ce, v162
	v_fmac_f32_e32 v162, 0xbf4178ce, v203
	v_add_f32_e32 v156, v156, v164
	v_add_f32_e32 v158, v158, v159
	;; [unrolled: 1-line block ×4, first 2 shown]
	v_fmamk_f32 v162, v175, 0x3f575c64, v161
	v_add_f32_e32 v159, v160, v169
	v_fma_f32 v160, 0x3f575c64, v175, -v161
	v_add_f32_e32 v156, v162, v156
	v_mul_f32_e32 v162, 0x3f575c64, v236
	v_add_f32_e32 v158, v160, v158
	v_fmamk_f32 v164, v174, 0x3f0a6770, v162
	v_fmac_f32_e32 v162, 0xbf0a6770, v174
	v_add_f32_e32 v157, v164, v157
	v_mul_f32_e32 v164, 0xbe903f40, v163
	v_add_f32_e32 v159, v162, v159
	v_mul_f32_e32 v162, 0x3f575c64, v187
	v_mul_f32_e32 v163, 0x3f68dda4, v163
	;; [unrolled: 1-line block ×3, first 2 shown]
	v_fmamk_f32 v167, v184, 0xbf75a155, v164
	v_fma_f32 v160, 0xbf75a155, v184, -v164
	v_fmamk_f32 v164, v177, 0xbf0a6770, v162
	v_fmac_f32_e32 v162, 0x3f0a6770, v177
	v_mul_f32_e32 v177, 0xbf75a155, v188
	v_add_f32_e32 v156, v167, v156
	v_mul_f32_e32 v167, 0xbf75a155, v198
	v_add_f32_e32 v158, v160, v158
	v_add_f32_e32 v164, v164, v246
	;; [unrolled: 1-line block ×3, first 2 shown]
	v_mul_f32_e32 v182, 0x3f7d64f0, v180
	v_fmamk_f32 v168, v199, 0x3e903f40, v167
	v_fmac_f32_e32 v167, 0xbe903f40, v199
	v_add_f32_e32 v157, v168, v157
	v_mul_f32_e32 v168, 0x3f68dda4, v200
	v_add_f32_e32 v159, v167, v159
	v_mul_f32_e32 v167, 0xbf4178ce, v238
	v_fma_f32 v160, 0x3ed4b147, v201, -v168
	v_fmamk_f32 v176, v201, 0x3ed4b147, v168
	v_fmamk_f32 v168, v175, 0xbf27a4f4, v167
	v_add_f32_e32 v158, v160, v158
	v_mul_f32_e32 v160, 0x3f0a6770, v172
	v_add_f32_e32 v156, v176, v156
	v_mul_f32_e32 v176, 0x3ed4b147, v202
	v_mul_f32_e32 v172, 0x3ed4b147, v188
	v_fmamk_f32 v161, v181, 0x3f575c64, v160
	v_fma_f32 v160, 0x3f575c64, v181, -v160
	v_fmamk_f32 v183, v203, 0xbf68dda4, v176
	v_fmac_f32_e32 v176, 0x3f68dda4, v203
	v_fmamk_f32 v181, v237, 0xbe903f40, v177
	v_add_f32_e32 v161, v161, v239
	v_add_f32_e32 v160, v160, v165
	v_fma_f32 v165, 0xbf27a4f4, v175, -v167
	v_mul_f32_e32 v167, 0x3ed4b147, v198
	v_add_f32_e32 v157, v183, v157
	v_add_f32_e32 v161, v168, v161
	v_mul_f32_e32 v168, 0xbf27a4f4, v236
	v_add_f32_e32 v160, v165, v160
	v_mul_f32_e32 v165, 0xbf7d64f0, v200
	v_fmac_f32_e32 v177, 0x3e903f40, v237
	v_mul_f32_e32 v183, 0xbe11bafb, v188
	v_fmamk_f32 v169, v174, 0x3f4178ce, v168
	v_fmac_f32_e32 v168, 0xbf4178ce, v174
	v_mul_f32_e32 v174, 0x3e903f40, v180
	v_add_f32_e32 v159, v176, v159
	v_add_f32_e32 v177, v177, v191
	;; [unrolled: 1-line block ×3, first 2 shown]
	v_fmamk_f32 v169, v184, 0x3ed4b147, v163
	v_add_f32_e32 v162, v168, v162
	v_fma_f32 v163, 0x3ed4b147, v184, -v163
	v_mul_f32_e32 v168, 0xbe11bafb, v202
	v_fmamk_f32 v176, v189, 0xbf75a155, v174
	v_add_f32_e32 v161, v169, v161
	v_fmamk_f32 v169, v199, 0xbf68dda4, v167
	v_fmac_f32_e32 v167, 0x3f68dda4, v199
	v_add_f32_e32 v163, v163, v160
	v_fmamk_f32 v160, v201, 0xbe11bafb, v165
	v_fma_f32 v165, 0xbe11bafb, v201, -v165
	v_add_f32_e32 v164, v169, v164
	v_add_f32_e32 v167, v167, v162
	v_fmamk_f32 v162, v203, 0x3f7d64f0, v168
	v_mul_f32_e32 v169, 0xbf68dda4, v180
	v_fmac_f32_e32 v168, 0xbf7d64f0, v203
	v_add_f32_e32 v160, v160, v161
	v_fma_f32 v174, 0xbf75a155, v189, -v174
	v_add_f32_e32 v161, v162, v164
	v_fmamk_f32 v164, v189, 0x3ed4b147, v169
	v_add_f32_e32 v162, v165, v163
	v_add_f32_e32 v163, v168, v167
	v_fmamk_f32 v165, v237, 0x3f68dda4, v172
	v_mul_f32_e32 v167, 0xbf4178ce, v180
	v_fma_f32 v168, 0x3ed4b147, v189, -v169
	v_mul_f32_e32 v169, 0xbf27a4f4, v188
	v_mul_f32_e32 v180, 0x3f0a6770, v180
	;; [unrolled: 1-line block ×3, first 2 shown]
	v_add_f32_e32 v164, v164, v247
	v_fmac_f32_e32 v172, 0xbf68dda4, v237
	v_add_f32_e32 v165, v165, v166
	v_fmamk_f32 v166, v189, 0xbf27a4f4, v167
	v_fma_f32 v167, 0xbf27a4f4, v189, -v167
	v_fmamk_f32 v184, v189, 0xbe11bafb, v182
	v_fmamk_f32 v185, v237, 0xbf7d64f0, v183
	v_fma_f32 v182, 0xbe11bafb, v189, -v182
	v_fmac_f32_e32 v183, 0x3f7d64f0, v237
	v_fmamk_f32 v186, v189, 0x3f575c64, v180
	v_fma_f32 v180, 0x3f575c64, v189, -v180
	v_fmamk_f32 v189, v170, 0xbe11bafb, v188
	v_mul_f32_e32 v191, 0xbe11bafb, v173
	v_add_f32_e32 v168, v168, v243
	v_add_f32_e32 v172, v172, v218
	v_fmamk_f32 v175, v237, 0x3f4178ce, v169
	v_add_f32_e32 v181, v181, v193
	v_add_f32_e32 v183, v183, v192
	;; [unrolled: 1-line block ×3, first 2 shown]
	v_fmamk_f32 v189, v171, 0x3f7d64f0, v191
	v_mul_f32_e32 v192, 0x3e903f40, v255
	v_fma_f32 v188, 0xbe11bafb, v170, -v188
	v_fmac_f32_e32 v191, 0xbf7d64f0, v171
	v_mul_f32_e32 v193, 0xbf75a155, v173
	v_add_f32_e32 v166, v166, v250
	v_add_f32_e32 v175, v175, v190
	;; [unrolled: 1-line block ×3, first 2 shown]
	v_fmamk_f32 v189, v170, 0xbf75a155, v192
	v_add_f32_e32 v168, v188, v168
	v_add_f32_e32 v172, v191, v172
	v_fmamk_f32 v188, v171, 0xbe903f40, v193
	v_mul_f32_e32 v191, 0x3f68dda4, v255
	v_fmac_f32_e32 v169, 0xbf4178ce, v237
	v_add_f32_e32 v167, v167, v244
	v_add_f32_e32 v176, v176, v252
	;; [unrolled: 1-line block ×3, first 2 shown]
	v_fma_f32 v189, 0xbf75a155, v170, -v192
	v_add_f32_e32 v175, v188, v175
	v_fmamk_f32 v188, v170, 0x3ed4b147, v191
	v_mul_f32_e32 v192, 0x3ed4b147, v173
	v_add_f32_e32 v169, v169, v240
	v_add_f32_e32 v174, v174, v251
	;; [unrolled: 1-line block ×3, first 2 shown]
	v_fmac_f32_e32 v193, 0x3e903f40, v171
	v_add_f32_e32 v167, v189, v167
	v_mul_f32_e32 v189, 0xbf0a6770, v255
	v_add_f32_e32 v176, v188, v176
	v_fmamk_f32 v188, v171, 0xbf68dda4, v192
	v_fma_f32 v191, 0x3ed4b147, v170, -v191
	v_mul_f32_e32 v194, 0x3f575c64, v173
	v_add_f32_e32 v182, v182, v253
	v_fmamk_f32 v190, v237, 0xbf0a6770, v187
	v_add_f32_e32 v169, v193, v169
	v_fmac_f32_e32 v192, 0x3f68dda4, v171
	v_fmamk_f32 v193, v170, 0x3f575c64, v189
	v_add_f32_e32 v181, v188, v181
	v_add_f32_e32 v174, v191, v174
	v_fmamk_f32 v188, v171, 0x3f0a6770, v194
	v_mul_f32_e32 v191, 0xbf4178ce, v255
	v_mul_f32_e32 v173, 0xbf27a4f4, v173
	v_fma_f32 v189, 0x3f575c64, v170, -v189
	v_add_f32_e32 v186, v186, v245
	v_fmac_f32_e32 v187, 0x3f0a6770, v237
	v_add_f32_e32 v190, v190, v195
	v_add_f32_e32 v177, v192, v177
	;; [unrolled: 1-line block ×3, first 2 shown]
	v_fmamk_f32 v188, v170, 0xbf27a4f4, v191
	v_fmamk_f32 v192, v171, 0x3f4178ce, v173
	v_add_f32_e32 v182, v189, v182
	v_sub_f32_e32 v189, v145, v149
	v_add_f32_e32 v145, v149, v145
	v_add_f32_e32 v180, v180, v254
	;; [unrolled: 1-line block ×6, first 2 shown]
	v_mul_f32_e32 v149, 0xbf4178ce, v189
	v_fma_f32 v170, 0xbf27a4f4, v170, -v191
	v_fmac_f32_e32 v173, 0xbf4178ce, v171
	v_sub_f32_e32 v144, v144, v148
	v_mul_f32_e32 v148, 0xbf27a4f4, v145
	v_fmac_f32_e32 v194, 0xbf0a6770, v171
	v_fmamk_f32 v171, v190, 0xbf27a4f4, v149
	v_add_f32_e32 v170, v170, v180
	v_add_f32_e32 v173, v173, v187
	v_mul_f32_e32 v180, 0x3f7d64f0, v189
	v_fmamk_f32 v187, v144, 0x3f4178ce, v148
	v_fma_f32 v149, 0xbf27a4f4, v190, -v149
	v_add_f32_e32 v164, v171, v164
	v_fmac_f32_e32 v148, 0xbf4178ce, v144
	v_fmamk_f32 v171, v190, 0xbe11bafb, v180
	v_add_f32_e32 v165, v187, v165
	v_mul_f32_e32 v187, 0xbe11bafb, v145
	v_add_f32_e32 v149, v149, v168
	v_mul_f32_e32 v168, 0xbf0a6770, v189
	v_add_f32_e32 v148, v148, v172
	v_add_f32_e32 v166, v171, v166
	v_fmamk_f32 v171, v144, 0xbf7d64f0, v187
	v_fma_f32 v172, 0xbe11bafb, v190, -v180
	v_mul_f32_e32 v180, 0x3f575c64, v145
	v_fmamk_f32 v191, v190, 0x3f575c64, v168
	v_add_f32_e32 v184, v184, v248
	v_fmac_f32_e32 v187, 0x3f7d64f0, v144
	v_add_f32_e32 v171, v171, v175
	v_add_f32_e32 v167, v172, v167
	v_fmamk_f32 v172, v144, 0x3f0a6770, v180
	v_add_f32_e32 v175, v191, v176
	v_mul_f32_e32 v176, 0xbe903f40, v189
	v_fma_f32 v168, 0x3f575c64, v190, -v168
	v_fmac_f32_e32 v180, 0xbf0a6770, v144
	v_add_f32_e32 v184, v193, v184
	v_add_f32_e32 v169, v187, v169
	v_fmamk_f32 v187, v190, 0xbf75a155, v176
	v_add_f32_e32 v168, v168, v174
	v_add_f32_e32 v174, v180, v177
	v_mul_f32_e32 v177, 0x3f68dda4, v189
	v_add_f32_e32 v172, v172, v181
	v_mul_f32_e32 v181, 0xbf75a155, v145
	v_add_f32_e32 v184, v187, v184
	v_fma_f32 v176, 0xbf75a155, v190, -v176
	v_fmamk_f32 v187, v190, 0x3ed4b147, v177
	v_add_f32_e32 v183, v194, v183
	v_fmamk_f32 v180, v144, 0x3e903f40, v181
	v_fmac_f32_e32 v181, 0xbe903f40, v144
	v_add_f32_e32 v176, v176, v182
	v_add_f32_e32 v182, v187, v186
	;; [unrolled: 1-line block ×3, first 2 shown]
	v_mul_f32_e32 v145, 0x3ed4b147, v145
	v_add_f32_e32 v181, v181, v183
	v_sub_f32_e32 v183, v137, v141
	v_sub_f32_e32 v189, v136, v140
	v_mul_f32_e32 v141, 0xbf75a155, v186
	v_add_f32_e32 v180, v180, v185
	v_fmamk_f32 v185, v144, 0xbf68dda4, v145
	v_add_f32_e32 v187, v140, v136
	v_mul_f32_e32 v137, 0xbe903f40, v183
	v_fmac_f32_e32 v145, 0x3f68dda4, v144
	v_fmamk_f32 v140, v189, 0x3e903f40, v141
	v_fma_f32 v177, 0x3ed4b147, v190, -v177
	v_add_f32_e32 v185, v185, v188
	v_fmamk_f32 v136, v187, 0xbf75a155, v137
	v_add_f32_e32 v188, v145, v173
	v_mul_f32_e32 v145, 0x3f0a6770, v183
	v_fma_f32 v144, 0xbf75a155, v187, -v137
	v_fmac_f32_e32 v141, 0xbe903f40, v189
	v_add_f32_e32 v137, v140, v165
	v_mul_f32_e32 v165, 0x3f575c64, v186
	v_add_f32_e32 v177, v177, v170
	v_add_f32_e32 v136, v136, v164
	v_fmamk_f32 v164, v187, 0x3f575c64, v145
	v_add_f32_e32 v140, v144, v149
	v_add_f32_e32 v141, v141, v148
	v_mul_f32_e32 v170, 0xbf4178ce, v183
	v_fmamk_f32 v148, v189, 0xbf0a6770, v165
	v_fma_f32 v149, 0x3f575c64, v187, -v145
	v_fmac_f32_e32 v165, 0x3f0a6770, v189
	v_mul_f32_e32 v173, 0xbf27a4f4, v186
	v_add_f32_e32 v144, v164, v166
	v_fmamk_f32 v164, v187, 0xbf27a4f4, v170
	v_add_f32_e32 v145, v148, v171
	v_add_f32_e32 v148, v149, v167
	;; [unrolled: 1-line block ×3, first 2 shown]
	v_fmamk_f32 v165, v189, 0x3f4178ce, v173
	v_mul_f32_e32 v169, 0x3f68dda4, v183
	v_fmac_f32_e32 v173, 0xbf4178ce, v189
	v_mul_f32_e32 v171, 0x3ed4b147, v186
	v_add_f32_e32 v164, v164, v175
	v_fma_f32 v166, 0xbf27a4f4, v187, -v170
	v_add_f32_e32 v165, v165, v172
	v_fmamk_f32 v170, v187, 0x3ed4b147, v169
	v_add_f32_e32 v167, v173, v174
	v_fmamk_f32 v172, v189, 0xbf68dda4, v171
	v_fma_f32 v173, 0x3ed4b147, v187, -v169
	v_mul_f32_e32 v174, 0xbf7d64f0, v183
	v_mul_f32_e32 v175, 0xbe11bafb, v186
	v_add_f32_e32 v166, v166, v168
	v_add_f32_e32 v168, v170, v184
	;; [unrolled: 1-line block ×4, first 2 shown]
	v_fmac_f32_e32 v171, 0x3f68dda4, v189
	v_fmamk_f32 v172, v187, 0xbe11bafb, v174
	v_fmamk_f32 v173, v189, 0x3f7d64f0, v175
	v_fma_f32 v174, 0xbe11bafb, v187, -v174
	v_fmac_f32_e32 v175, 0xbf7d64f0, v189
	v_add_f32_e32 v171, v171, v181
	v_add_f32_e32 v172, v172, v182
	;; [unrolled: 1-line block ×5, first 2 shown]
	ds_write2_b64 v241, v[154:155], v[142:143] offset1:1
	ds_write2_b64 v241, v[138:139], v[150:151] offset0:2 offset1:3
	ds_write2_b64 v241, v[156:157], v[160:161] offset0:4 offset1:5
	;; [unrolled: 1-line block ×4, first 2 shown]
	ds_write_b64 v241, v[134:135] offset:80
	ds_write2_b64 v242, v[132:133], v[136:137] offset1:1
	ds_write2_b64 v242, v[144:145], v[164:165] offset0:2 offset1:3
	ds_write2_b64 v242, v[168:169], v[172:173] offset0:4 offset1:5
	;; [unrolled: 1-line block ×4, first 2 shown]
	ds_write_b64 v242, v[140:141] offset:80
	s_and_saveexec_b32 s0, vcc_lo
	s_cbranch_execz .LBB0_13
; %bb.12:
	v_add_f32_e32 v144, v234, v129
	v_sub_f32_e32 v137, v128, v233
	v_add_f32_e32 v145, v3, v21
	v_sub_f32_e32 v135, v20, v2
	v_sub_f32_e32 v150, v129, v234
	v_mul_f32_e32 v147, 0xbf75a155, v144
	v_add_f32_e32 v146, v1, v23
	v_mul_f32_e32 v149, 0x3f575c64, v145
	v_add_f32_e32 v138, v233, v128
	v_sub_f32_e32 v152, v21, v3
	v_fmamk_f32 v132, v137, 0x3e903f40, v147
	v_mul_f32_e32 v154, 0xbe903f40, v150
	v_fmamk_f32 v133, v135, 0xbf0a6770, v149
	v_sub_f32_e32 v136, v22, v0
	v_add_f32_e32 v148, v7, v9
	v_add_f32_e32 v132, v131, v132
	v_mul_f32_e32 v151, 0xbf27a4f4, v146
	v_add_f32_e32 v139, v2, v20
	v_mul_f32_e32 v155, 0x3f0a6770, v152
	v_sub_f32_e32 v156, v23, v1
	v_add_f32_e32 v132, v133, v132
	v_fmamk_f32 v133, v138, 0xbf75a155, v154
	v_sub_f32_e32 v134, v8, v6
	v_mul_f32_e32 v153, 0x3ed4b147, v148
	v_fmamk_f32 v140, v136, 0x3f4178ce, v151
	v_add_f32_e32 v157, v5, v11
	v_add_f32_e32 v133, v130, v133
	v_fmamk_f32 v142, v139, 0x3f575c64, v155
	v_add_f32_e32 v141, v0, v22
	v_mul_f32_e32 v158, 0xbf4178ce, v156
	v_sub_f32_e32 v160, v9, v7
	v_fmamk_f32 v143, v134, 0xbf68dda4, v153
	v_add_f32_e32 v132, v140, v132
	v_mul_f32_e32 v159, 0xbe11bafb, v157
	v_sub_f32_e32 v140, v10, v4
	v_add_f32_e32 v133, v142, v133
	v_fmamk_f32 v161, v141, 0xbf27a4f4, v158
	v_add_f32_e32 v142, v6, v8
	v_mul_f32_e32 v162, 0x3f68dda4, v160
	v_add_f32_e32 v132, v143, v132
	v_fmamk_f32 v143, v140, 0x3f7d64f0, v159
	v_add_f32_e32 v161, v161, v133
	v_mul_f32_e32 v164, 0xbf27a4f4, v144
	v_fmamk_f32 v163, v142, 0x3ed4b147, v162
	v_mul_f32_e32 v169, 0x3f575c64, v146
	v_add_f32_e32 v133, v143, v132
	v_add_f32_e32 v129, v129, v131
	;; [unrolled: 1-line block ×4, first 2 shown]
	v_fmamk_f32 v161, v137, 0x3f4178ce, v164
	v_mul_f32_e32 v163, 0xbe11bafb, v145
	v_mul_f32_e32 v173, 0xbf75a155, v148
	v_add_f32_e32 v21, v21, v129
	v_add_f32_e32 v20, v20, v128
	;; [unrolled: 1-line block ×3, first 2 shown]
	v_fmamk_f32 v168, v135, 0xbf7d64f0, v163
	v_mul_f32_e32 v167, 0xbf4178ce, v150
	v_add_f32_e32 v23, v23, v21
	v_add_f32_e32 v20, v22, v20
	v_fmamk_f32 v21, v134, 0x3e903f40, v173
	v_add_f32_e32 v161, v168, v161
	v_fmamk_f32 v168, v136, 0x3f0a6770, v169
	v_mul_f32_e32 v22, 0x3ed4b147, v157
	v_mul_f32_e32 v174, 0xbe11bafb, v144
	v_add_f32_e32 v8, v8, v20
	v_fmamk_f32 v171, v138, 0xbf27a4f4, v167
	v_add_f32_e32 v129, v168, v161
	v_mul_f32_e32 v172, 0x3f7d64f0, v152
	v_add_f32_e32 v9, v9, v23
	v_mul_f32_e32 v23, 0xbf75a155, v145
	v_add_f32_e32 v8, v10, v8
	v_add_f32_e32 v21, v21, v129
	v_fmamk_f32 v129, v140, 0xbf68dda4, v22
	v_sub_f32_e32 v165, v11, v5
	v_add_f32_e32 v143, v4, v10
	v_add_f32_e32 v171, v130, v171
	v_fmamk_f32 v128, v139, 0xbe11bafb, v172
	v_add_f32_e32 v21, v129, v21
	v_fmamk_f32 v129, v137, 0x3f7d64f0, v174
	v_mul_f32_e32 v161, 0xbf0a6770, v156
	v_add_f32_e32 v9, v11, v9
	v_mul_f32_e32 v10, 0xbf7d64f0, v150
	v_add_f32_e32 v4, v4, v8
	v_add_f32_e32 v11, v131, v129
	v_fmamk_f32 v129, v135, 0xbe903f40, v23
	v_add_f32_e32 v128, v128, v171
	v_fmamk_f32 v168, v141, 0x3f575c64, v161
	v_mul_f32_e32 v171, 0xbe903f40, v160
	v_add_f32_e32 v5, v5, v9
	v_fmamk_f32 v8, v138, 0xbe11bafb, v10
	v_add_f32_e32 v9, v129, v11
	v_mul_f32_e32 v129, 0x3e903f40, v152
	v_add_f32_e32 v4, v6, v4
	v_mul_f32_e32 v166, 0xbf7d64f0, v165
	v_add_f32_e32 v128, v168, v128
	v_fmamk_f32 v168, v142, 0xbf75a155, v171
	v_add_f32_e32 v8, v130, v8
	v_fmamk_f32 v11, v139, 0xbf75a155, v129
	v_add_f32_e32 v0, v0, v4
	v_mul_f32_e32 v175, 0x3f68dda4, v156
	v_fmamk_f32 v170, v143, 0xbe11bafb, v166
	v_add_f32_e32 v20, v168, v128
	v_mul_f32_e32 v168, 0x3ed4b147, v146
	v_add_f32_e32 v5, v7, v5
	v_add_f32_e32 v4, v11, v8
	;; [unrolled: 1-line block ×3, first 2 shown]
	v_fmamk_f32 v2, v141, 0x3ed4b147, v175
	v_mul_f32_e32 v177, 0xbf0a6770, v160
	v_add_f32_e32 v132, v170, v132
	v_mul_f32_e32 v128, 0x3f68dda4, v165
	v_fmamk_f32 v6, v136, 0xbf68dda4, v168
	v_mul_f32_e32 v170, 0x3f575c64, v148
	v_add_f32_e32 v1, v1, v5
	v_mul_f32_e32 v176, 0x3ed4b147, v144
	v_add_f32_e32 v2, v2, v4
	v_fmamk_f32 v4, v142, 0x3f575c64, v177
	v_mul_f32_e32 v182, 0xbf68dda4, v150
	v_fmamk_f32 v7, v143, 0x3ed4b147, v128
	v_add_f32_e32 v6, v6, v9
	v_fmamk_f32 v5, v134, 0x3f0a6770, v170
	v_add_f32_e32 v1, v3, v1
	v_mul_f32_e32 v180, 0xbf27a4f4, v157
	v_fmamk_f32 v3, v137, 0x3f68dda4, v176
	v_mul_f32_e32 v181, 0xbf27a4f4, v145
	v_add_f32_e32 v2, v4, v2
	v_fmamk_f32 v4, v138, 0x3ed4b147, v182
	v_mul_f32_e32 v184, 0xbf4178ce, v152
	v_add_f32_e32 v20, v7, v20
	v_add_f32_e32 v3, v131, v3
	v_fmamk_f32 v7, v135, 0x3f4178ce, v181
	v_add_f32_e32 v5, v5, v6
	v_fmamk_f32 v6, v140, 0x3f4178ce, v180
	v_mul_f32_e32 v185, 0xbf75a155, v146
	v_add_f32_e32 v4, v130, v4
	v_fmamk_f32 v9, v139, 0xbf27a4f4, v184
	v_mul_f32_e32 v186, 0x3e903f40, v156
	v_add_f32_e32 v7, v7, v3
	v_add_f32_e32 v3, v6, v5
	v_fmamk_f32 v5, v136, 0xbe903f40, v185
	v_add_f32_e32 v4, v9, v4
	v_mul_f32_e32 v187, 0xbe11bafb, v148
	v_fmamk_f32 v6, v141, 0xbf75a155, v186
	v_mul_f32_e32 v188, 0x3f7d64f0, v160
	v_add_f32_e32 v5, v5, v7
	v_mul_f32_e32 v189, 0x3f575c64, v157
	v_fmamk_f32 v7, v134, 0xbf7d64f0, v187
	v_add_f32_e32 v4, v6, v4
	v_fmamk_f32 v6, v142, 0xbe11bafb, v188
	v_mul_f32_e32 v190, 0x3f0a6770, v165
	v_mul_f32_e32 v144, 0x3f575c64, v144
	v_add_f32_e32 v5, v7, v5
	v_mul_f32_e32 v145, 0x3ed4b147, v145
	v_add_f32_e32 v4, v6, v4
	v_fmamk_f32 v6, v140, 0xbf0a6770, v189
	v_mul_f32_e32 v146, 0xbe11bafb, v146
	v_mul_f32_e32 v148, 0xbf27a4f4, v148
	v_fmamk_f32 v7, v135, 0x3f68dda4, v145
	v_mul_f32_e32 v183, 0xbf4178ce, v165
	v_add_f32_e32 v5, v6, v5
	v_fmamk_f32 v6, v143, 0x3f575c64, v190
	v_mul_f32_e32 v150, 0xbf0a6770, v150
	v_mul_f32_e32 v152, 0xbf68dda4, v152
	v_fmamk_f32 v8, v143, 0xbf27a4f4, v183
	v_mul_f32_e32 v156, 0xbf7d64f0, v156
	v_add_f32_e32 v4, v6, v4
	v_fmamk_f32 v6, v137, 0x3f0a6770, v144
	v_mul_f32_e32 v160, 0xbf4178ce, v160
	v_add_f32_e32 v2, v8, v2
	;; [unrolled: 3-line block ×3, first 2 shown]
	v_mul_f32_e32 v165, 0xbe903f40, v165
	v_fmac_f32_e32 v147, 0xbe903f40, v137
	v_fmac_f32_e32 v149, 0x3f0a6770, v135
	;; [unrolled: 1-line block ×3, first 2 shown]
	v_add_f32_e32 v6, v7, v6
	v_fmamk_f32 v7, v136, 0x3f7d64f0, v146
	v_fma_f32 v9, 0xbf75a155, v138, -v154
	v_fmac_f32_e32 v164, 0xbf4178ce, v137
	v_fmac_f32_e32 v153, 0x3f68dda4, v134
	v_fma_f32 v11, 0x3f575c64, v139, -v155
	v_add_f32_e32 v6, v7, v6
	v_fmamk_f32 v7, v134, 0x3f4178ce, v148
	v_add_f32_e32 v9, v130, v9
	v_fmac_f32_e32 v163, 0x3f7d64f0, v135
	v_fmac_f32_e32 v169, 0xbf0a6770, v136
	v_fmac_f32_e32 v159, 0xbf7d64f0, v140
	v_add_f32_e32 v6, v7, v6
	v_fmamk_f32 v7, v138, 0x3f575c64, v150
	v_add_f32_e32 v9, v11, v9
	v_fma_f32 v11, 0xbf27a4f4, v141, -v158
	v_fma_f32 v10, 0xbe11bafb, v138, -v10
	v_fmac_f32_e32 v173, 0xbe903f40, v134
	v_add_f32_e32 v7, v130, v7
	v_fma_f32 v129, 0xbf75a155, v139, -v129
	v_add_f32_e32 v11, v11, v9
	v_add_f32_e32 v10, v130, v10
	v_fmac_f32_e32 v22, 0x3f68dda4, v140
	v_add_f32_e32 v7, v8, v7
	v_fmamk_f32 v8, v141, 0xbe11bafb, v156
	v_fma_f32 v128, 0x3ed4b147, v143, -v128
	v_add_f32_e32 v10, v129, v10
	v_fma_f32 v129, 0x3ed4b147, v141, -v175
	v_fmac_f32_e32 v174, 0xbf7d64f0, v137
	v_add_f32_e32 v7, v8, v7
	v_fmamk_f32 v8, v142, 0xbf27a4f4, v160
	v_fmac_f32_e32 v176, 0xbf68dda4, v137
	v_add_f32_e32 v10, v129, v10
	v_fma_f32 v129, 0x3f575c64, v142, -v177
	v_fmac_f32_e32 v144, 0xbf0a6770, v137
	v_add_f32_e32 v8, v8, v7
	v_fmamk_f32 v7, v140, 0x3e903f40, v157
	v_fma_f32 v137, 0x3f575c64, v138, -v150
	v_add_f32_e32 v129, v129, v10
	v_fmac_f32_e32 v168, 0x3f68dda4, v136
	v_fmac_f32_e32 v185, 0x3e903f40, v136
	v_add_f32_e32 v7, v7, v6
	v_fmamk_f32 v6, v143, 0xbf75a155, v165
	v_fmac_f32_e32 v146, 0xbf7d64f0, v136
	v_fma_f32 v136, 0xbe11bafb, v142, -v188
	v_fmac_f32_e32 v23, 0x3e903f40, v135
	v_fmac_f32_e32 v181, 0xbf4178ce, v135
	v_add_f32_e32 v6, v6, v8
	v_add_f32_e32 v8, v131, v147
	;; [unrolled: 1-line block ×3, first 2 shown]
	v_fmac_f32_e32 v145, 0xbf68dda4, v135
	v_fma_f32 v135, 0x3ed4b147, v139, -v152
	v_fmac_f32_e32 v170, 0xbf0a6770, v134
	v_add_f32_e32 v8, v149, v8
	v_fma_f32 v149, 0xbf27a4f4, v138, -v167
	v_add_f32_e32 v147, v163, v147
	v_fmac_f32_e32 v187, 0x3f7d64f0, v134
	v_fmac_f32_e32 v148, 0xbf4178ce, v134
	v_add_f32_e32 v8, v151, v8
	v_add_f32_e32 v149, v130, v149
	v_fma_f32 v151, 0xbe11bafb, v139, -v172
	v_add_f32_e32 v147, v169, v147
	v_fma_f32 v134, 0xbf27a4f4, v142, -v160
	;; [unrolled: 2-line block ×4, first 2 shown]
	v_add_f32_e32 v147, v173, v147
	v_add_f32_e32 v9, v159, v8
	v_fma_f32 v8, 0x3f575c64, v141, -v161
	v_add_f32_e32 v11, v153, v11
	v_fma_f32 v153, 0xbf75a155, v142, -v171
	v_fmac_f32_e32 v180, 0xbf4178ce, v140
	v_fmac_f32_e32 v189, 0x3f0a6770, v140
	v_add_f32_e32 v149, v8, v149
	v_add_f32_e32 v8, v151, v11
	;; [unrolled: 1-line block ×6, first 2 shown]
	v_fma_f32 v149, 0xbf27a4f4, v143, -v183
	v_add_f32_e32 v0, v233, v0
	v_add_f32_e32 v23, v23, v147
	;; [unrolled: 1-line block ×4, first 2 shown]
	v_fma_f32 v128, 0x3ed4b147, v138, -v182
	v_fma_f32 v138, 0xbf27a4f4, v139, -v184
	v_add_f32_e32 v131, v131, v144
	v_add_f32_e32 v147, v181, v147
	;; [unrolled: 1-line block ×5, first 2 shown]
	v_fma_f32 v137, 0xbf75a155, v141, -v186
	v_add_f32_e32 v131, v145, v131
	v_add_f32_e32 v147, v185, v147
	v_add_f32_e32 v128, v138, v128
	v_add_f32_e32 v130, v135, v130
	v_fma_f32 v135, 0xbe11bafb, v141, -v156
	v_add_f32_e32 v131, v146, v131
	v_add_f32_e32 v23, v170, v23
	;; [unrolled: 1-line block ×6, first 2 shown]
	v_fma_f32 v135, 0x3f575c64, v143, -v190
	v_add_f32_e32 v128, v136, v128
	buffer_load_dword v136, off, s[20:23], 0 offset:144 ; 4-byte Folded Reload
	v_add_f32_e32 v131, v148, v131
	v_fmac_f32_e32 v157, 0xbe903f40, v140
	v_add_f32_e32 v130, v134, v130
	v_fma_f32 v134, 0xbf75a155, v143, -v165
	v_add_f32_e32 v23, v180, v23
	v_add_f32_e32 v129, v189, v129
	v_add_f32_e32 v128, v135, v128
	v_add_f32_e32 v131, v157, v131
	v_add_f32_e32 v130, v134, v130
	s_waitcnt vmcnt(0)
	v_lshlrev_b32_e32 v136, 3, v136
	ds_write2_b64 v136, v[0:1], v[6:7] offset1:1
	ds_write2_b64 v136, v[4:5], v[2:3] offset0:2 offset1:3
	ds_write2_b64 v136, v[20:21], v[132:133] offset0:4 offset1:5
	;; [unrolled: 1-line block ×4, first 2 shown]
	ds_write_b64 v136, v[130:131] offset:80
.LBB0_13:
	s_or_b32 exec_lo, exec_lo, s0
	v_add_nc_u32_e32 v129, 0x400, v235
	v_add_nc_u32_e32 v22, 0x1000, v235
	;; [unrolled: 1-line block ×3, first 2 shown]
	s_waitcnt lgkmcnt(0)
	s_barrier
	buffer_gl0_inv
	ds_read2_b64 v[0:3], v129 offset0:92 offset1:147
	ds_read2_b64 v[130:133], v22 offset0:38 offset1:93
	;; [unrolled: 1-line block ×3, first 2 shown]
	v_add_nc_u32_e32 v20, 0x2000, v235
	v_add_nc_u32_e32 v23, 0x800, v235
	ds_read2_b64 v[8:11], v235 offset1:55
	ds_read2_b64 v[4:7], v235 offset0:110 offset1:165
	v_add_nc_u32_e32 v128, 0x1c00, v235
	ds_read2_b64 v[138:141], v20 offset0:76 offset1:131
	ds_read_b64 v[166:167], v235 offset:10560
	ds_read2_b64 v[142:145], v23 offset0:74 offset1:129
	ds_read2_b64 v[146:149], v21 offset0:112 offset1:167
	;; [unrolled: 1-line block ×6, first 2 shown]
	s_waitcnt lgkmcnt(0)
	s_barrier
	buffer_gl0_inv
	s_mov_b32 s2, 0x4a19b16e
	s_mov_b32 s3, 0x3f47d4ce
	s_mul_hi_u32 s1, s8, 0x7d
	v_mul_f32_e32 v168, v29, v3
	v_mul_f32_e32 v29, v29, v2
	;; [unrolled: 1-line block ×6, first 2 shown]
	v_fmac_f32_e32 v168, v28, v2
	v_fma_f32 v29, v28, v3, -v29
	v_fmac_f32_e32 v169, v30, v130
	v_fmac_f32_e32 v170, v24, v136
	v_mul_f32_e32 v130, v27, v139
	v_mul_f32_e32 v2, v27, v138
	;; [unrolled: 1-line block ×4, first 2 shown]
	v_fma_f32 v30, v30, v131, -v31
	v_fma_f32 v31, v24, v137, -v25
	v_mul_f32_e32 v131, v17, v143
	v_fmac_f32_e32 v130, v26, v138
	v_fma_f32 v137, v26, v139, -v2
	v_fma_f32 v138, v16, v143, -v3
	v_fmac_f32_e32 v136, v18, v132
	v_mul_f32_e32 v2, v19, v132
	v_mul_f32_e32 v132, v13, v147
	;; [unrolled: 1-line block ×5, first 2 shown]
	v_fmac_f32_e32 v131, v16, v142
	v_fma_f32 v133, v18, v133, -v2
	v_fma_f32 v142, v12, v147, -v3
	v_fmac_f32_e32 v139, v14, v140
	v_fma_f32 v140, v14, v141, -v13
	v_mul_f32_e32 v141, v61, v145
	v_mul_f32_e32 v2, v61, v144
	v_mul_f32_e32 v61, v63, v151
	v_mul_f32_e32 v3, v63, v150
	v_mul_f32_e32 v63, v57, v149
	v_fmac_f32_e32 v141, v60, v144
	v_fma_f32 v60, v60, v145, -v2
	v_fmac_f32_e32 v61, v62, v150
	v_fma_f32 v62, v62, v151, -v3
	v_mul_f32_e32 v2, v57, v148
	v_mul_f32_e32 v57, v59, v155
	v_mul_f32_e32 v3, v59, v154
	v_fmac_f32_e32 v132, v12, v146
	v_fmac_f32_e32 v63, v56, v148
	v_mul_f32_e32 v12, v53, v158
	v_fma_f32 v56, v56, v149, -v2
	v_fmac_f32_e32 v57, v58, v154
	v_fma_f32 v58, v58, v155, -v3
	v_mul_f32_e32 v2, v55, v152
	v_mul_f32_e32 v3, v49, v162
	v_fma_f32 v143, v52, v159, -v12
	v_mul_f32_e32 v12, v47, v134
	v_sub_f32_e32 v13, v29, v137
	v_fma_f32 v147, v54, v153, -v2
	v_fma_f32 v148, v48, v163, -v3
	v_mul_f32_e32 v2, v51, v156
	v_mul_f32_e32 v3, v45, v160
	v_fma_f32 v19, v46, v135, -v12
	v_add_f32_e32 v12, v8, v168
	v_mul_f32_e32 v24, v47, v135
	v_fma_f32 v149, v50, v157, -v2
	v_fma_f32 v18, v44, v161, -v3
	v_add_f32_e32 v2, v169, v170
	v_mul_f32_e32 v3, v41, v164
	v_mul_f32_e32 v27, v41, v165
	;; [unrolled: 1-line block ×3, first 2 shown]
	v_sub_f32_e32 v15, v30, v31
	v_fma_f32 v2, -0.5, v2, v8
	v_fma_f32 v26, v40, v165, -v3
	v_add_f32_e32 v3, v12, v169
	v_sub_f32_e32 v14, v168, v169
	v_sub_f32_e32 v16, v130, v170
	v_fmamk_f32 v12, v13, 0xbf737871, v2
	v_add_f32_e32 v17, v168, v130
	v_mul_f32_e32 v28, v43, v166
	v_add_f32_e32 v3, v3, v170
	v_fmac_f32_e32 v2, 0x3f737871, v13
	v_mul_f32_e32 v25, v45, v161
	v_fmac_f32_e32 v27, v40, v164
	v_fmac_f32_e32 v135, v42, v166
	;; [unrolled: 1-line block ×3, first 2 shown]
	v_add_f32_e32 v40, v14, v16
	v_fma_f32 v8, -0.5, v17, v8
	v_fma_f32 v28, v42, v167, -v28
	v_add_f32_e32 v16, v3, v130
	v_sub_f32_e32 v3, v169, v168
	v_sub_f32_e32 v17, v170, v130
	v_fmac_f32_e32 v2, 0x3f167918, v15
	v_add_f32_e32 v41, v9, v29
	v_add_f32_e32 v42, v30, v31
	v_fmac_f32_e32 v25, v44, v160
	v_fmac_f32_e32 v12, 0x3e9e377a, v40
	v_fmamk_f32 v14, v15, 0x3f737871, v8
	v_add_f32_e32 v17, v3, v17
	v_fmac_f32_e32 v8, 0xbf737871, v15
	v_add_f32_e32 v15, v41, v30
	v_fma_f32 v3, -0.5, v42, v9
	v_sub_f32_e32 v41, v168, v130
	v_fmac_f32_e32 v2, 0x3e9e377a, v40
	v_add_f32_e32 v40, v29, v137
	v_sub_f32_e32 v43, v29, v30
	v_sub_f32_e32 v44, v137, v31
	v_fmac_f32_e32 v14, 0xbf167918, v13
	v_fmac_f32_e32 v8, 0x3f167918, v13
	v_add_f32_e32 v15, v15, v31
	v_fmamk_f32 v13, v41, 0x3f737871, v3
	v_sub_f32_e32 v42, v169, v170
	v_fma_f32 v9, -0.5, v40, v9
	v_add_f32_e32 v40, v43, v44
	v_fmac_f32_e32 v3, 0xbf737871, v41
	v_add_f32_e32 v43, v10, v131
	v_fmac_f32_e32 v14, 0x3e9e377a, v17
	v_fmac_f32_e32 v8, 0x3e9e377a, v17
	v_add_f32_e32 v17, v15, v137
	v_fmac_f32_e32 v13, 0x3f167918, v42
	v_fmamk_f32 v15, v42, 0xbf737871, v9
	v_sub_f32_e32 v29, v30, v29
	v_sub_f32_e32 v30, v31, v137
	v_add_f32_e32 v31, v136, v132
	v_fmac_f32_e32 v3, 0xbf167918, v42
	v_fmac_f32_e32 v9, 0x3f737871, v42
	v_add_f32_e32 v42, v43, v136
	v_fmac_f32_e32 v24, v46, v134
	v_fmac_f32_e32 v15, 0x3f167918, v41
	v_add_f32_e32 v30, v29, v30
	v_fma_f32 v29, -0.5, v31, v10
	v_sub_f32_e32 v31, v138, v140
	v_add_f32_e32 v46, v131, v139
	v_fmac_f32_e32 v9, 0xbf167918, v41
	v_add_f32_e32 v41, v42, v132
	v_mul_f32_e32 v145, v49, v163
	v_fmac_f32_e32 v13, 0x3e9e377a, v40
	v_fmac_f32_e32 v3, 0x3e9e377a, v40
	;; [unrolled: 1-line block ×3, first 2 shown]
	v_fmamk_f32 v40, v31, 0xbf737871, v29
	v_sub_f32_e32 v43, v133, v142
	v_sub_f32_e32 v44, v131, v136
	;; [unrolled: 1-line block ×3, first 2 shown]
	v_fma_f32 v10, -0.5, v46, v10
	v_fmac_f32_e32 v9, 0x3e9e377a, v30
	v_add_f32_e32 v42, v41, v139
	v_fmac_f32_e32 v29, 0x3f737871, v31
	v_sub_f32_e32 v30, v136, v131
	v_sub_f32_e32 v41, v132, v139
	v_add_f32_e32 v46, v11, v138
	v_fmac_f32_e32 v145, v48, v162
	v_fmac_f32_e32 v40, 0xbf167918, v43
	v_add_f32_e32 v45, v44, v45
	v_fmamk_f32 v44, v43, 0x3f737871, v10
	v_fmac_f32_e32 v29, 0x3f167918, v43
	v_add_f32_e32 v47, v133, v142
	v_add_f32_e32 v48, v30, v41
	v_fmac_f32_e32 v10, 0xbf737871, v43
	v_add_f32_e32 v41, v46, v133
	v_fmac_f32_e32 v40, 0x3e9e377a, v45
	v_fmac_f32_e32 v44, 0xbf167918, v31
	v_fma_f32 v30, -0.5, v47, v11
	v_sub_f32_e32 v47, v131, v139
	v_fmac_f32_e32 v29, 0x3e9e377a, v45
	v_fmac_f32_e32 v10, 0x3f167918, v31
	v_add_f32_e32 v31, v41, v142
	v_add_f32_e32 v43, v138, v140
	v_sub_f32_e32 v45, v138, v133
	v_sub_f32_e32 v46, v140, v142
	v_mul_f32_e32 v146, v51, v157
	v_fmac_f32_e32 v44, 0x3e9e377a, v48
	v_fmamk_f32 v41, v47, 0x3f737871, v30
	v_sub_f32_e32 v49, v136, v132
	v_fmac_f32_e32 v10, 0x3e9e377a, v48
	v_fmac_f32_e32 v11, -0.5, v43
	v_add_f32_e32 v43, v31, v140
	v_add_f32_e32 v31, v45, v46
	v_fmac_f32_e32 v30, 0xbf737871, v47
	v_sub_f32_e32 v46, v133, v138
	v_sub_f32_e32 v48, v142, v140
	v_mul_f32_e32 v144, v55, v153
	v_fmac_f32_e32 v146, v50, v156
	v_fmac_f32_e32 v41, 0x3f167918, v49
	v_add_f32_e32 v50, v61, v63
	v_fmac_f32_e32 v30, 0xbf167918, v49
	v_add_f32_e32 v51, v46, v48
	v_add_f32_e32 v48, v4, v141
	v_mul_f32_e32 v59, v53, v159
	v_fmac_f32_e32 v144, v54, v152
	v_fmamk_f32 v45, v49, 0xbf737871, v11
	v_fmac_f32_e32 v41, 0x3e9e377a, v31
	v_fma_f32 v46, -0.5, v50, v4
	v_sub_f32_e32 v53, v60, v58
	v_fmac_f32_e32 v30, 0x3e9e377a, v31
	v_fmac_f32_e32 v11, 0x3f737871, v49
	v_add_f32_e32 v31, v48, v61
	v_add_f32_e32 v54, v141, v57
	v_fmac_f32_e32 v59, v52, v158
	v_fmac_f32_e32 v45, 0x3f167918, v47
	v_fmamk_f32 v48, v53, 0xbf737871, v46
	v_sub_f32_e32 v49, v62, v56
	v_sub_f32_e32 v50, v141, v61
	;; [unrolled: 1-line block ×3, first 2 shown]
	v_fmac_f32_e32 v11, 0xbf167918, v47
	v_add_f32_e32 v31, v31, v63
	v_fma_f32 v4, -0.5, v54, v4
	v_fmac_f32_e32 v46, 0x3f737871, v53
	v_fmac_f32_e32 v45, 0x3e9e377a, v51
	;; [unrolled: 1-line block ×3, first 2 shown]
	v_add_f32_e32 v55, v50, v52
	v_fmac_f32_e32 v11, 0x3e9e377a, v51
	v_add_f32_e32 v50, v31, v57
	v_fmamk_f32 v52, v49, 0x3f737871, v4
	v_sub_f32_e32 v31, v61, v141
	v_sub_f32_e32 v47, v63, v57
	v_fmac_f32_e32 v46, 0x3f167918, v49
	v_add_f32_e32 v51, v5, v60
	v_add_f32_e32 v54, v62, v56
	v_fmac_f32_e32 v4, 0xbf737871, v49
	v_fmac_f32_e32 v48, 0x3e9e377a, v55
	v_fmac_f32_e32 v52, 0xbf167918, v53
	v_add_f32_e32 v31, v31, v47
	v_add_f32_e32 v49, v51, v62
	v_fma_f32 v47, -0.5, v54, v5
	v_sub_f32_e32 v57, v141, v57
	v_fmac_f32_e32 v46, 0x3e9e377a, v55
	v_fmac_f32_e32 v4, 0x3f167918, v53
	v_sub_f32_e32 v55, v61, v63
	v_sub_f32_e32 v54, v60, v62
	;; [unrolled: 1-line block ×3, first 2 shown]
	v_fmac_f32_e32 v52, 0x3e9e377a, v31
	v_add_f32_e32 v51, v49, v56
	v_fmamk_f32 v49, v57, 0x3f737871, v47
	v_add_f32_e32 v53, v60, v58
	v_fmac_f32_e32 v4, 0x3e9e377a, v31
	v_add_f32_e32 v31, v54, v61
	v_fmac_f32_e32 v47, 0xbf737871, v57
	v_sub_f32_e32 v54, v62, v60
	v_sub_f32_e32 v56, v56, v58
	v_fma_f32 v5, -0.5, v53, v5
	v_fmac_f32_e32 v49, 0x3f167918, v55
	v_fmac_f32_e32 v47, 0xbf167918, v55
	v_add_f32_e32 v51, v51, v58
	v_add_f32_e32 v60, v54, v56
	;; [unrolled: 1-line block ×3, first 2 shown]
	v_fmamk_f32 v53, v55, 0xbf737871, v5
	v_fmac_f32_e32 v49, 0x3e9e377a, v31
	v_add_f32_e32 v58, v144, v145
	v_fmac_f32_e32 v47, 0x3e9e377a, v31
	v_fmac_f32_e32 v5, 0x3f737871, v55
	v_add_f32_e32 v31, v56, v144
	v_add_f32_e32 v63, v59, v146
	v_fmac_f32_e32 v53, 0x3f167918, v57
	v_fma_f32 v54, -0.5, v58, v6
	v_sub_f32_e32 v61, v143, v149
	v_sub_f32_e32 v55, v147, v148
	;; [unrolled: 1-line block ×4, first 2 shown]
	v_fmac_f32_e32 v5, 0xbf167918, v57
	v_add_f32_e32 v31, v31, v145
	v_fma_f32 v6, -0.5, v63, v6
	v_fmac_f32_e32 v53, 0x3e9e377a, v60
	v_fmamk_f32 v56, v61, 0xbf737871, v54
	v_add_f32_e32 v57, v58, v62
	v_fmac_f32_e32 v5, 0x3e9e377a, v60
	v_add_f32_e32 v58, v31, v146
	v_fmac_f32_e32 v54, 0x3f737871, v61
	v_fmamk_f32 v60, v55, 0x3f737871, v6
	v_sub_f32_e32 v31, v144, v59
	v_sub_f32_e32 v62, v145, v146
	v_add_f32_e32 v63, v7, v143
	v_add_f32_e32 v130, v147, v148
	v_fmac_f32_e32 v6, 0xbf737871, v55
	v_fmac_f32_e32 v56, 0xbf167918, v55
	;; [unrolled: 1-line block ×4, first 2 shown]
	v_add_f32_e32 v31, v31, v62
	v_add_f32_e32 v62, v63, v147
	v_fma_f32 v55, -0.5, v130, v7
	v_sub_f32_e32 v63, v59, v146
	v_fmac_f32_e32 v6, 0x3f167918, v61
	v_add_f32_e32 v61, v143, v149
	v_sub_f32_e32 v130, v143, v147
	v_sub_f32_e32 v131, v149, v148
	v_fmac_f32_e32 v56, 0x3e9e377a, v57
	v_fmac_f32_e32 v54, 0x3e9e377a, v57
	;; [unrolled: 1-line block ×3, first 2 shown]
	v_add_f32_e32 v59, v62, v148
	v_fmamk_f32 v57, v63, 0x3f737871, v55
	v_sub_f32_e32 v62, v144, v145
	v_fmac_f32_e32 v6, 0x3e9e377a, v31
	v_fmac_f32_e32 v7, -0.5, v61
	v_add_f32_e32 v31, v130, v131
	v_fmac_f32_e32 v55, 0xbf737871, v63
	v_sub_f32_e32 v130, v147, v143
	v_sub_f32_e32 v131, v148, v149
	v_add_f32_e32 v132, v24, v27
	v_fmac_f32_e32 v57, 0x3f167918, v62
	v_fmamk_f32 v61, v62, 0xbf737871, v7
	v_fmac_f32_e32 v55, 0xbf167918, v62
	v_add_f32_e32 v131, v130, v131
	v_fmac_f32_e32 v7, 0x3f737871, v62
	v_add_f32_e32 v130, v0, v25
	v_fma_f32 v62, -0.5, v132, v0
	v_sub_f32_e32 v133, v18, v28
	v_fmac_f32_e32 v57, 0x3e9e377a, v31
	v_fmac_f32_e32 v61, 0x3f167918, v63
	;; [unrolled: 1-line block ×4, first 2 shown]
	v_add_f32_e32 v31, v130, v24
	v_fmamk_f32 v130, v133, 0xbf737871, v62
	v_sub_f32_e32 v63, v19, v26
	v_sub_f32_e32 v132, v25, v24
	;; [unrolled: 1-line block ×3, first 2 shown]
	v_fmac_f32_e32 v62, 0x3f737871, v133
	v_add_f32_e32 v136, v25, v135
	v_add_f32_e32 v31, v31, v27
	v_fmac_f32_e32 v130, 0xbf167918, v63
	v_add_f32_e32 v134, v132, v134
	v_fmac_f32_e32 v62, 0x3f167918, v63
	v_fma_f32 v0, -0.5, v136, v0
	v_fmac_f32_e32 v61, 0x3e9e377a, v131
	v_fmac_f32_e32 v7, 0x3e9e377a, v131
	v_add_f32_e32 v132, v31, v135
	v_fmac_f32_e32 v130, 0x3e9e377a, v134
	v_fmac_f32_e32 v62, 0x3e9e377a, v134
	v_fmamk_f32 v134, v63, 0x3f737871, v0
	v_add_f32_e32 v31, v19, v26
	v_sub_f32_e32 v131, v24, v25
	v_sub_f32_e32 v136, v27, v135
	v_fmac_f32_e32 v0, 0xbf737871, v63
	v_sub_f32_e32 v25, v25, v135
	v_add_f32_e32 v135, v18, v28
	v_add_f32_e32 v137, v1, v18
	v_fma_f32 v63, -0.5, v31, v1
	v_fmac_f32_e32 v134, 0xbf167918, v133
	v_add_f32_e32 v31, v131, v136
	v_fmac_f32_e32 v0, 0x3f167918, v133
	v_sub_f32_e32 v24, v24, v27
	v_fmac_f32_e32 v1, -0.5, v135
	v_add_f32_e32 v133, v137, v19
	v_fmac_f32_e32 v134, 0x3e9e377a, v31
	v_fmac_f32_e32 v0, 0x3e9e377a, v31
	v_sub_f32_e32 v31, v18, v19
	v_fmamk_f32 v135, v24, 0xbf737871, v1
	v_sub_f32_e32 v18, v19, v18
	v_sub_f32_e32 v19, v26, v28
	v_fmac_f32_e32 v1, 0x3f737871, v24
	v_add_f32_e32 v59, v59, v149
	v_fmac_f32_e32 v135, 0x3f167918, v25
	v_fmamk_f32 v131, v25, 0x3f737871, v63
	v_add_f32_e32 v18, v18, v19
	v_fmac_f32_e32 v1, 0xbf167918, v25
	v_add_f32_e32 v27, v133, v26
	v_sub_f32_e32 v133, v28, v26
	v_fmac_f32_e32 v63, 0xbf737871, v25
	v_fmac_f32_e32 v135, 0x3e9e377a, v18
	;; [unrolled: 1-line block ×3, first 2 shown]
	buffer_load_dword v18, off, s[20:23], 0 offset:108 ; 4-byte Folded Reload
	v_fmac_f32_e32 v131, 0x3f167918, v24
	v_add_f32_e32 v26, v31, v133
	v_fmac_f32_e32 v63, 0xbf167918, v24
	v_add_f32_e32 v133, v27, v28
	s_waitcnt vmcnt(0)
	ds_write2_b64 v18, v[16:17], v[12:13] offset1:11
	ds_write2_b64 v18, v[14:15], v[8:9] offset0:22 offset1:33
	ds_write_b64 v18, v[2:3] offset:352
	buffer_load_dword v2, off, s[20:23], 0 offset:112 ; 4-byte Folded Reload
	v_fmac_f32_e32 v131, 0x3e9e377a, v26
	v_fmac_f32_e32 v63, 0x3e9e377a, v26
	s_waitcnt vmcnt(0)
	ds_write2_b64 v2, v[42:43], v[40:41] offset1:11
	ds_write2_b64 v2, v[44:45], v[10:11] offset0:22 offset1:33
	ds_write_b64 v2, v[29:30] offset:352
	buffer_load_dword v2, off, s[20:23], 0 offset:116 ; 4-byte Folded Reload
	s_waitcnt vmcnt(0)
	ds_write2_b64 v2, v[50:51], v[48:49] offset1:11
	ds_write2_b64 v2, v[52:53], v[4:5] offset0:22 offset1:33
	ds_write_b64 v2, v[46:47] offset:352
	buffer_load_dword v2, off, s[20:23], 0 offset:120 ; 4-byte Folded Reload
	;; [unrolled: 5-line block ×3, first 2 shown]
	s_waitcnt vmcnt(0)
	ds_write2_b64 v2, v[132:133], v[130:131] offset1:11
	ds_write2_b64 v2, v[134:135], v[0:1] offset0:22 offset1:33
	ds_write_b64 v2, v[62:63] offset:352
	s_waitcnt lgkmcnt(0)
	s_barrier
	buffer_gl0_inv
	ds_read2_b64 v[0:3], v129 offset0:92 offset1:147
	ds_read2_b64 v[12:15], v22 offset0:38 offset1:93
	;; [unrolled: 1-line block ×3, first 2 shown]
	ds_read2_b64 v[8:11], v235 offset1:55
	ds_read2_b64 v[24:27], v20 offset0:76 offset1:131
	ds_read2_b64 v[28:31], v23 offset0:74 offset1:129
	;; [unrolled: 1-line block ×8, first 2 shown]
	ds_read_b64 v[60:61], v235 offset:10560
	s_waitcnt lgkmcnt(0)
	s_barrier
	buffer_gl0_inv
	v_mul_f32_e32 v62, v33, v3
	v_mul_f32_e32 v63, v35, v13
	;; [unrolled: 1-line block ×5, first 2 shown]
	v_fmac_f32_e32 v62, v32, v2
	v_mul_f32_e32 v2, v33, v2
	v_mul_f32_e32 v134, v33, v29
	;; [unrolled: 1-line block ×3, first 2 shown]
	v_fmac_f32_e32 v63, v34, v12
	v_fma_f32 v130, v34, v13, -v130
	v_fma_f32 v133, v32, v3, -v2
	v_mul_f32_e32 v2, v39, v24
	v_mul_f32_e32 v3, v33, v28
	v_fmac_f32_e32 v137, v36, v40
	v_mul_f32_e32 v13, v39, v25
	v_fmac_f32_e32 v134, v32, v28
	v_fma_f32 v33, v38, v25, -v2
	v_mul_f32_e32 v2, v35, v14
	v_fma_f32 v136, v32, v29, -v3
	v_mul_f32_e32 v3, v37, v40
	v_mul_f32_e32 v40, v85, v31
	;; [unrolled: 1-line block ×3, first 2 shown]
	v_fma_f32 v37, v34, v15, -v2
	v_mul_f32_e32 v2, v85, v30
	v_mul_f32_e32 v12, v39, v26
	v_fma_f32 v39, v36, v41, -v3
	v_mul_f32_e32 v85, v87, v45
	v_mul_f32_e32 v3, v87, v44
	;; [unrolled: 1-line block ×3, first 2 shown]
	v_fmac_f32_e32 v40, v84, v30
	v_fma_f32 v84, v84, v31, -v2
	v_mul_f32_e32 v2, v81, v42
	v_mul_f32_e32 v81, v77, v53
	v_fmac_f32_e32 v13, v38, v24
	v_fmac_f32_e32 v32, v38, v26
	v_fma_f32 v38, v38, v27, -v12
	v_fma_f32 v45, v86, v45, -v3
	v_fmac_f32_e32 v87, v80, v42
	v_mul_f32_e32 v42, v83, v49
	v_mul_f32_e32 v3, v83, v48
	v_mul_f32_e32 v12, v77, v52
	v_fma_f32 v77, v80, v43, -v2
	v_fmac_f32_e32 v81, v76, v52
	v_mul_f32_e32 v52, v79, v47
	v_mul_f32_e32 v2, v79, v46
	v_fmac_f32_e32 v42, v82, v48
	v_fma_f32 v48, v82, v49, -v3
	v_fma_f32 v53, v76, v53, -v12
	v_mul_f32_e32 v76, v73, v57
	v_mul_f32_e32 v3, v73, v56
	v_fmac_f32_e32 v131, v36, v18
	v_fmac_f32_e32 v52, v78, v46
	v_fma_f32 v78, v78, v47, -v2
	v_mul_f32_e32 v2, v75, v50
	v_fmac_f32_e32 v76, v72, v56
	v_fma_f32 v56, v72, v57, -v3
	v_mul_f32_e32 v3, v69, v54
	v_mul_f32_e32 v12, v71, v16
	v_fma_f32 v57, v74, v51, -v2
	v_add_f32_e32 v2, v63, v131
	v_fma_f32 v132, v36, v19, -v132
	v_fma_f32 v18, v68, v55, -v3
	;; [unrolled: 1-line block ×3, first 2 shown]
	v_mul_f32_e32 v3, v65, v58
	v_add_f32_e32 v12, v8, v62
	v_mul_f32_e32 v135, v35, v15
	v_mul_f32_e32 v24, v71, v17
	v_fma_f32 v2, -0.5, v2, v8
	v_sub_f32_e32 v15, v133, v33
	v_add_f32_e32 v28, v62, v13
	v_fma_f32 v26, v64, v59, -v3
	v_add_f32_e32 v3, v12, v63
	v_fmac_f32_e32 v135, v34, v14
	v_fmac_f32_e32 v24, v70, v16
	v_fmamk_f32 v12, v15, 0xbf737871, v2
	v_sub_f32_e32 v17, v130, v132
	v_sub_f32_e32 v14, v62, v63
	;; [unrolled: 1-line block ×3, first 2 shown]
	v_fma_f32 v8, -0.5, v28, v8
	v_fmac_f32_e32 v2, 0x3f737871, v15
	v_add_f32_e32 v31, v9, v133
	v_mul_f32_e32 v29, v67, v60
	v_add_f32_e32 v3, v3, v131
	v_fmac_f32_e32 v12, 0xbf167918, v17
	v_add_f32_e32 v30, v14, v16
	v_fmamk_f32 v14, v17, 0x3f737871, v8
	v_fmac_f32_e32 v2, 0x3f167918, v17
	v_fmac_f32_e32 v8, 0xbf737871, v17
	v_add_f32_e32 v17, v31, v130
	v_fma_f32 v28, v66, v61, -v29
	v_add_f32_e32 v16, v3, v13
	v_sub_f32_e32 v3, v63, v62
	v_sub_f32_e32 v29, v131, v13
	v_add_f32_e32 v34, v130, v132
	v_fmac_f32_e32 v14, 0xbf167918, v15
	v_fmac_f32_e32 v8, 0x3f167918, v15
	v_add_f32_e32 v15, v17, v132
	v_add_f32_e32 v17, v133, v33
	;; [unrolled: 1-line block ×3, first 2 shown]
	v_fma_f32 v3, -0.5, v34, v9
	v_sub_f32_e32 v34, v62, v13
	v_fmac_f32_e32 v12, 0x3e9e377a, v30
	v_fmac_f32_e32 v2, 0x3e9e377a, v30
	v_sub_f32_e32 v30, v63, v131
	v_fma_f32 v9, -0.5, v17, v9
	v_fmamk_f32 v13, v34, 0x3f737871, v3
	v_sub_f32_e32 v31, v133, v130
	v_sub_f32_e32 v35, v33, v132
	v_fmac_f32_e32 v14, 0x3e9e377a, v29
	v_fmac_f32_e32 v8, 0x3e9e377a, v29
	v_add_f32_e32 v17, v15, v33
	v_fmamk_f32 v15, v30, 0xbf737871, v9
	v_sub_f32_e32 v29, v130, v133
	v_sub_f32_e32 v33, v132, v33
	v_fmac_f32_e32 v9, 0x3f737871, v30
	v_fmac_f32_e32 v13, 0x3f167918, v30
	v_add_f32_e32 v31, v31, v35
	v_fmac_f32_e32 v15, 0x3f167918, v34
	v_add_f32_e32 v33, v29, v33
	v_fmac_f32_e32 v9, 0xbf167918, v34
	v_fmac_f32_e32 v3, 0xbf737871, v34
	;; [unrolled: 1-line block ×3, first 2 shown]
	v_add_f32_e32 v35, v135, v137
	v_fmac_f32_e32 v15, 0x3e9e377a, v33
	v_fmac_f32_e32 v9, 0x3e9e377a, v33
	ds_write2_b64 v235, v[16:17], v[12:13] offset1:55
	ds_write2_b64 v235, v[14:15], v[8:9] offset0:110 offset1:165
	buffer_load_dword v12, off, s[20:23], 0 offset:136 ; 4-byte Folded Reload
	v_add_f32_e32 v36, v10, v134
	v_fmac_f32_e32 v85, v86, v44
	v_fmac_f32_e32 v3, 0xbf167918, v30
	v_fma_f32 v29, -0.5, v35, v10
	v_sub_f32_e32 v41, v136, v38
	v_add_f32_e32 v30, v36, v135
	v_add_f32_e32 v44, v134, v32
	v_fmac_f32_e32 v3, 0x3e9e377a, v31
	v_sub_f32_e32 v36, v37, v39
	v_fmamk_f32 v31, v41, 0xbf737871, v29
	v_sub_f32_e32 v35, v134, v135
	v_sub_f32_e32 v43, v32, v137
	v_add_f32_e32 v30, v30, v137
	v_fma_f32 v10, -0.5, v44, v10
	v_fmac_f32_e32 v29, 0x3f737871, v41
	v_add_f32_e32 v44, v11, v136
	v_fmac_f32_e32 v31, 0xbf167918, v36
	v_add_f32_e32 v34, v35, v43
	v_add_f32_e32 v33, v30, v32
	v_fmamk_f32 v35, v36, 0x3f737871, v10
	v_sub_f32_e32 v30, v135, v134
	v_sub_f32_e32 v43, v137, v32
	v_fmac_f32_e32 v29, 0x3f167918, v36
	v_add_f32_e32 v46, v37, v39
	v_fmac_f32_e32 v10, 0xbf737871, v36
	v_add_f32_e32 v36, v44, v37
	;; [unrolled: 2-line block ×3, first 2 shown]
	v_fma_f32 v30, -0.5, v46, v11
	v_sub_f32_e32 v44, v134, v32
	v_fmac_f32_e32 v29, 0x3e9e377a, v34
	v_add_f32_e32 v34, v36, v39
	v_add_f32_e32 v36, v136, v38
	v_fmac_f32_e32 v35, 0xbf167918, v41
	v_fmac_f32_e32 v10, 0x3f167918, v41
	v_fmamk_f32 v32, v44, 0x3f737871, v30
	v_sub_f32_e32 v41, v135, v137
	v_sub_f32_e32 v46, v136, v37
	;; [unrolled: 1-line block ×3, first 2 shown]
	v_add_f32_e32 v34, v34, v38
	v_fmac_f32_e32 v30, 0xbf737871, v44
	v_sub_f32_e32 v37, v37, v136
	v_sub_f32_e32 v38, v39, v38
	v_add_f32_e32 v39, v85, v87
	v_fmac_f32_e32 v11, -0.5, v36
	v_mul_f32_e32 v73, v75, v51
	v_fmac_f32_e32 v35, 0x3e9e377a, v43
	v_fmac_f32_e32 v10, 0x3e9e377a, v43
	;; [unrolled: 1-line block ×3, first 2 shown]
	v_add_f32_e32 v43, v46, v47
	v_fmac_f32_e32 v30, 0xbf167918, v41
	v_add_f32_e32 v38, v37, v38
	v_add_f32_e32 v46, v4, v40
	v_fma_f32 v37, -0.5, v39, v4
	v_sub_f32_e32 v47, v84, v48
	v_fmamk_f32 v36, v41, 0xbf737871, v11
	v_fmac_f32_e32 v11, 0x3f737871, v41
	v_fmac_f32_e32 v73, v74, v50
	;; [unrolled: 1-line block ×4, first 2 shown]
	v_add_f32_e32 v41, v46, v85
	v_fmamk_f32 v39, v47, 0xbf737871, v37
	v_sub_f32_e32 v46, v45, v77
	v_sub_f32_e32 v43, v40, v85
	;; [unrolled: 1-line block ×3, first 2 shown]
	v_add_f32_e32 v50, v40, v42
	v_fmac_f32_e32 v37, 0x3f737871, v47
	v_fmac_f32_e32 v36, 0x3f167918, v44
	;; [unrolled: 1-line block ×4, first 2 shown]
	v_add_f32_e32 v44, v43, v49
	v_fma_f32 v4, -0.5, v50, v4
	v_fmac_f32_e32 v37, 0x3f167918, v46
	v_add_f32_e32 v50, v5, v84
	v_fmac_f32_e32 v36, 0x3e9e377a, v38
	v_fmac_f32_e32 v11, 0x3e9e377a, v38
	v_sub_f32_e32 v38, v85, v40
	v_sub_f32_e32 v49, v87, v42
	v_add_f32_e32 v51, v45, v77
	v_add_f32_e32 v41, v41, v87
	v_fmac_f32_e32 v39, 0x3e9e377a, v44
	v_fmamk_f32 v43, v46, 0x3f737871, v4
	v_fmac_f32_e32 v4, 0xbf737871, v46
	v_add_f32_e32 v46, v50, v45
	v_fmac_f32_e32 v37, 0x3e9e377a, v44
	v_add_f32_e32 v44, v84, v48
	v_add_f32_e32 v49, v38, v49
	v_fma_f32 v38, -0.5, v51, v5
	v_sub_f32_e32 v50, v40, v42
	v_add_f32_e32 v41, v41, v42
	v_add_f32_e32 v42, v46, v77
	v_sub_f32_e32 v46, v85, v87
	v_fma_f32 v5, -0.5, v44, v5
	v_fmac_f32_e32 v43, 0xbf167918, v47
	v_fmac_f32_e32 v4, 0x3f167918, v47
	v_fmamk_f32 v40, v50, 0x3f737871, v38
	v_sub_f32_e32 v47, v84, v45
	v_sub_f32_e32 v51, v48, v77
	v_add_f32_e32 v42, v42, v48
	v_fmamk_f32 v44, v46, 0xbf737871, v5
	v_sub_f32_e32 v45, v45, v84
	v_sub_f32_e32 v48, v77, v48
	v_fmac_f32_e32 v5, 0x3f737871, v46
	v_fmac_f32_e32 v40, 0x3f167918, v46
	v_add_f32_e32 v47, v47, v51
	v_fmac_f32_e32 v44, 0x3f167918, v50
	v_add_f32_e32 v48, v45, v48
	v_fmac_f32_e32 v5, 0xbf167918, v50
	v_fmac_f32_e32 v43, 0x3e9e377a, v49
	;; [unrolled: 1-line block ×6, first 2 shown]
	ds_write2_b64 v129, v[2:3], v[33:34] offset0:92 offset1:147
	ds_write2_b64 v23, v[31:32], v[35:36] offset0:74 offset1:129
	;; [unrolled: 1-line block ×3, first 2 shown]
	buffer_load_dword v9, off, s[20:23], 0 offset:132 ; 4-byte Folded Reload
	v_fmac_f32_e32 v38, 0xbf737871, v50
	v_add_f32_e32 v51, v6, v81
	v_mul_f32_e32 v25, v69, v55
	v_mul_f32_e32 v27, v65, v59
	v_add_f32_e32 v49, v52, v76
	v_fmac_f32_e32 v38, 0xbf167918, v46
	v_add_f32_e32 v46, v51, v52
	v_fmac_f32_e32 v25, v68, v54
	v_fmac_f32_e32 v27, v64, v58
	v_fma_f32 v45, -0.5, v49, v6
	v_sub_f32_e32 v54, v53, v57
	v_sub_f32_e32 v49, v81, v52
	;; [unrolled: 1-line block ×3, first 2 shown]
	v_add_f32_e32 v58, v81, v73
	v_add_f32_e32 v46, v46, v76
	v_mul_f32_e32 v65, v67, v61
	v_fmac_f32_e32 v38, 0x3e9e377a, v47
	v_fmamk_f32 v47, v54, 0xbf737871, v45
	v_sub_f32_e32 v55, v78, v56
	v_add_f32_e32 v50, v49, v51
	v_fma_f32 v6, -0.5, v58, v6
	v_add_f32_e32 v49, v46, v73
	v_fmac_f32_e32 v45, 0x3f737871, v54
	v_sub_f32_e32 v46, v52, v81
	v_sub_f32_e32 v48, v76, v73
	v_add_f32_e32 v58, v7, v53
	v_fmac_f32_e32 v65, v66, v60
	v_fmac_f32_e32 v47, 0xbf167918, v55
	v_fmamk_f32 v51, v55, 0x3f737871, v6
	v_fmac_f32_e32 v45, 0x3f167918, v55
	v_add_f32_e32 v59, v78, v56
	v_add_f32_e32 v60, v46, v48
	v_fmac_f32_e32 v6, 0xbf737871, v55
	v_add_f32_e32 v48, v58, v78
	v_fmac_f32_e32 v47, 0x3e9e377a, v50
	v_fmac_f32_e32 v51, 0xbf167918, v54
	v_fma_f32 v46, -0.5, v59, v7
	v_sub_f32_e32 v55, v81, v73
	v_fmac_f32_e32 v45, 0x3e9e377a, v50
	v_fmac_f32_e32 v6, 0x3f167918, v54
	v_add_f32_e32 v50, v48, v56
	v_add_f32_e32 v54, v53, v57
	v_fmamk_f32 v48, v55, 0x3f737871, v46
	v_sub_f32_e32 v58, v52, v76
	v_sub_f32_e32 v52, v53, v78
	;; [unrolled: 1-line block ×3, first 2 shown]
	v_fmac_f32_e32 v7, -0.5, v54
	v_add_f32_e32 v50, v50, v57
	v_fmac_f32_e32 v46, 0xbf737871, v55
	v_sub_f32_e32 v53, v78, v53
	v_sub_f32_e32 v56, v56, v57
	v_add_f32_e32 v57, v24, v27
	v_fmac_f32_e32 v51, 0x3e9e377a, v60
	v_fmac_f32_e32 v6, 0x3e9e377a, v60
	;; [unrolled: 1-line block ×3, first 2 shown]
	v_add_f32_e32 v54, v52, v59
	v_fmamk_f32 v52, v58, 0xbf737871, v7
	v_fmac_f32_e32 v46, 0xbf167918, v58
	v_add_f32_e32 v56, v53, v56
	v_fmac_f32_e32 v7, 0x3f737871, v58
	v_add_f32_e32 v58, v0, v25
	v_fma_f32 v53, -0.5, v57, v0
	v_sub_f32_e32 v60, v18, v28
	v_fmac_f32_e32 v48, 0x3e9e377a, v54
	v_fmac_f32_e32 v52, 0x3f167918, v55
	;; [unrolled: 1-line block ×4, first 2 shown]
	v_add_f32_e32 v54, v58, v24
	v_fmamk_f32 v55, v60, 0xbf737871, v53
	v_sub_f32_e32 v58, v19, v26
	v_sub_f32_e32 v57, v25, v24
	;; [unrolled: 1-line block ×3, first 2 shown]
	v_fmac_f32_e32 v53, 0x3f737871, v60
	v_add_f32_e32 v61, v25, v65
	v_fmac_f32_e32 v55, 0xbf167918, v58
	v_add_f32_e32 v54, v54, v27
	v_add_f32_e32 v59, v57, v59
	v_fmac_f32_e32 v53, 0x3f167918, v58
	v_fma_f32 v0, -0.5, v61, v0
	v_fmac_f32_e32 v52, 0x3e9e377a, v56
	v_fmac_f32_e32 v7, 0x3e9e377a, v56
	;; [unrolled: 1-line block ×4, first 2 shown]
	v_fmamk_f32 v59, v58, 0x3f737871, v0
	v_fmac_f32_e32 v0, 0xbf737871, v58
	v_add_f32_e32 v57, v54, v65
	v_add_f32_e32 v54, v19, v26
	v_sub_f32_e32 v56, v24, v25
	v_sub_f32_e32 v61, v27, v65
	v_add_f32_e32 v58, v1, v18
	v_fmac_f32_e32 v59, 0xbf167918, v60
	v_fmac_f32_e32 v0, 0x3f167918, v60
	v_add_f32_e32 v60, v18, v28
	v_fma_f32 v54, -0.5, v54, v1
	v_sub_f32_e32 v25, v25, v65
	v_add_f32_e32 v61, v56, v61
	v_add_f32_e32 v58, v58, v19
	v_sub_f32_e32 v24, v24, v27
	v_fmac_f32_e32 v1, -0.5, v60
	v_fmamk_f32 v56, v25, 0x3f737871, v54
	v_fmac_f32_e32 v59, 0x3e9e377a, v61
	v_fmac_f32_e32 v0, 0x3e9e377a, v61
	v_add_f32_e32 v27, v58, v26
	v_sub_f32_e32 v58, v18, v19
	v_sub_f32_e32 v61, v28, v26
	v_fmamk_f32 v60, v24, 0xbf737871, v1
	v_sub_f32_e32 v18, v19, v18
	v_sub_f32_e32 v19, v26, v28
	v_fmac_f32_e32 v1, 0x3f737871, v24
	v_fmac_f32_e32 v54, 0xbf737871, v25
	;; [unrolled: 1-line block ×3, first 2 shown]
	v_add_f32_e32 v26, v58, v61
	v_add_f32_e32 v18, v18, v19
	v_fmac_f32_e32 v1, 0xbf167918, v25
	v_fmac_f32_e32 v54, 0xbf167918, v24
	;; [unrolled: 1-line block ×3, first 2 shown]
	v_add_f32_e32 v58, v27, v28
	v_fmac_f32_e32 v56, 0x3e9e377a, v26
	v_fmac_f32_e32 v1, 0x3e9e377a, v18
	;; [unrolled: 1-line block ×4, first 2 shown]
	s_waitcnt vmcnt(1)
	v_add_nc_u32_e32 v8, 0x1000, v12
	ds_write2_b64 v8, v[41:42], v[39:40] offset0:38 offset1:93
	ds_write2_b64 v8, v[43:44], v[4:5] offset0:148 offset1:203
	buffer_load_dword v4, off, s[20:23], 0 offset:128 ; 4-byte Folded Reload
	s_waitcnt vmcnt(1)
	v_add_nc_u32_e32 v2, 0x1800, v9
	s_waitcnt vmcnt(0)
	v_add_nc_u32_e32 v3, 0x2000, v4
	ds_write_b64 v12, v[37:38] offset:6160
	ds_write2_b64 v2, v[49:50], v[47:48] offset0:57 offset1:112
	ds_write2_b64 v2, v[51:52], v[6:7] offset0:167 offset1:222
	ds_write_b64 v9, v[45:46] offset:8360
	ds_write2_b64 v3, v[57:58], v[55:56] offset0:76 offset1:131
	ds_write2_b64 v3, v[59:60], v[0:1] offset0:186 offset1:241
	ds_write_b64 v4, v[53:54] offset:10560
	s_waitcnt lgkmcnt(0)
	s_barrier
	buffer_gl0_inv
	ds_read2_b64 v[0:3], v129 offset0:92 offset1:147
	ds_read2_b64 v[12:15], v22 offset0:38 offset1:93
	;; [unrolled: 1-line block ×3, first 2 shown]
	ds_read2_b64 v[8:11], v235 offset1:55
	ds_read2_b64 v[24:27], v20 offset0:76 offset1:131
	ds_read2_b64 v[28:31], v23 offset0:74 offset1:129
	;; [unrolled: 1-line block ×8, first 2 shown]
	ds_read_b64 v[52:53], v235 offset:10560
	s_waitcnt lgkmcnt(12)
	v_mul_f32_e32 v54, v101, v3
	s_waitcnt lgkmcnt(11)
	v_mul_f32_e32 v55, v103, v13
	v_mul_f32_e32 v56, v103, v12
	s_waitcnt lgkmcnt(10)
	v_mul_f32_e32 v57, v97, v19
	v_mul_f32_e32 v58, v97, v18
	v_fmac_f32_e32 v54, v100, v2
	v_mul_f32_e32 v2, v101, v2
	v_fmac_f32_e32 v55, v102, v12
	s_waitcnt lgkmcnt(8)
	v_mul_f32_e32 v12, v95, v26
	v_fma_f32 v56, v102, v13, -v56
	v_mul_f32_e32 v13, v99, v25
	v_fma_f32 v59, v100, v3, -v2
	s_waitcnt lgkmcnt(7)
	v_mul_f32_e32 v3, v89, v28
	v_mul_f32_e32 v2, v99, v24
	v_fma_f32 v68, v94, v27, -v12
	s_waitcnt lgkmcnt(2)
	v_mul_f32_e32 v12, v121, v44
	v_fmac_f32_e32 v57, v96, v18
	v_fma_f32 v63, v88, v29, -v3
	v_mul_f32_e32 v3, v93, v32
	v_fma_f32 v62, v98, v25, -v2
	v_mul_f32_e32 v2, v91, v14
	;; [unrolled: 2-line block ×8, first 2 shown]
	v_mul_f32_e32 v61, v91, v15
	v_fmac_f32_e32 v13, v98, v24
	v_fma_f32 v77, v106, v41, -v3
	s_waitcnt lgkmcnt(1)
	v_mul_f32_e32 v3, v117, v48
	v_fma_f32 v76, v104, v35, -v2
	v_mul_f32_e32 v2, v123, v38
	v_mul_f32_e32 v65, v95, v27
	;; [unrolled: 1-line block ×3, first 2 shown]
	v_fma_f32 v83, v116, v49, -v3
	v_mul_f32_e32 v3, v125, v46
	v_fma_f32 v82, v122, v39, -v2
	v_mul_f32_e32 v2, v119, v42
	v_fma_f32 v19, v126, v17, -v12
	v_add_f32_e32 v12, v8, v54
	v_fma_f32 v18, v124, v47, -v3
	v_mul_f32_e32 v3, v113, v50
	v_fmac_f32_e32 v60, v88, v28
	v_fmac_f32_e32 v61, v90, v14
	;; [unrolled: 1-line block ×3, first 2 shown]
	v_mul_f32_e32 v69, v109, v31
	v_fma_f32 v84, v118, v43, -v2
	v_fmac_f32_e32 v24, v126, v16
	v_add_f32_e32 v2, v55, v57
	v_fma_f32 v26, v112, v51, -v3
	v_add_f32_e32 v3, v12, v55
	v_sub_f32_e32 v14, v54, v55
	v_sub_f32_e32 v16, v13, v57
	v_add_f32_e32 v28, v54, v13
	v_mul_f32_e32 v64, v93, v33
	v_fmac_f32_e32 v69, v108, v30
	v_fma_f32 v2, -0.5, v2, v8
	v_sub_f32_e32 v15, v59, v62
	v_sub_f32_e32 v17, v56, v58
	s_waitcnt lgkmcnt(0)
	v_mul_f32_e32 v29, v115, v52
	v_add_f32_e32 v3, v3, v57
	v_add_f32_e32 v30, v14, v16
	v_fma_f32 v14, -0.5, v28, v8
	v_fmac_f32_e32 v64, v92, v32
	v_fmamk_f32 v12, v15, 0xbf737871, v2
	v_fma_f32 v28, v114, v53, -v29
	v_add_f32_e32 v8, v3, v13
	v_fmac_f32_e32 v2, 0x3f737871, v15
	v_fmamk_f32 v16, v17, 0x3f737871, v14
	v_sub_f32_e32 v3, v55, v54
	v_sub_f32_e32 v29, v57, v13
	v_add_f32_e32 v31, v9, v59
	v_add_f32_e32 v32, v56, v58
	v_fmac_f32_e32 v14, 0xbf737871, v17
	v_fmac_f32_e32 v12, 0xbf167918, v17
	;; [unrolled: 1-line block ×4, first 2 shown]
	v_add_f32_e32 v29, v3, v29
	v_add_f32_e32 v17, v31, v56
	v_fma_f32 v3, -0.5, v32, v9
	v_sub_f32_e32 v32, v54, v13
	v_fmac_f32_e32 v14, 0x3f167918, v15
	v_add_f32_e32 v15, v59, v62
	v_mul_f32_e32 v71, v105, v35
	v_fmac_f32_e32 v12, 0x3e9e377a, v30
	v_fmac_f32_e32 v2, 0x3e9e377a, v30
	v_add_f32_e32 v17, v17, v58
	v_fmamk_f32 v13, v32, 0x3f737871, v3
	v_sub_f32_e32 v30, v55, v57
	v_sub_f32_e32 v31, v59, v56
	;; [unrolled: 1-line block ×3, first 2 shown]
	v_fma_f32 v15, -0.5, v15, v9
	v_fmac_f32_e32 v3, 0xbf737871, v32
	v_add_f32_e32 v35, v10, v60
	v_fmac_f32_e32 v71, v104, v34
	v_mul_f32_e32 v79, v123, v39
	v_fmac_f32_e32 v16, 0x3e9e377a, v29
	v_fmac_f32_e32 v14, 0x3e9e377a, v29
	v_add_f32_e32 v9, v17, v62
	v_fmac_f32_e32 v13, 0x3f167918, v30
	v_add_f32_e32 v31, v31, v33
	v_fmamk_f32 v17, v30, 0xbf737871, v15
	v_sub_f32_e32 v29, v56, v59
	v_sub_f32_e32 v33, v58, v62
	v_add_f32_e32 v34, v61, v64
	v_fmac_f32_e32 v3, 0xbf167918, v30
	v_fmac_f32_e32 v15, 0x3f737871, v30
	v_add_f32_e32 v30, v35, v61
	v_mul_f32_e32 v70, v111, v37
	v_fmac_f32_e32 v79, v122, v38
	v_fmac_f32_e32 v17, 0x3f167918, v32
	v_add_f32_e32 v33, v29, v33
	v_fma_f32 v29, -0.5, v34, v10
	v_sub_f32_e32 v34, v63, v68
	v_sub_f32_e32 v35, v60, v61
	;; [unrolled: 1-line block ×3, first 2 shown]
	v_add_f32_e32 v38, v60, v65
	v_fmac_f32_e32 v15, 0xbf167918, v32
	v_add_f32_e32 v30, v30, v64
	v_fmac_f32_e32 v70, v110, v36
	v_fmac_f32_e32 v13, 0x3e9e377a, v31
	;; [unrolled: 1-line block ×4, first 2 shown]
	v_fmamk_f32 v31, v34, 0xbf737871, v29
	v_sub_f32_e32 v36, v66, v67
	v_add_f32_e32 v32, v35, v37
	v_fma_f32 v10, -0.5, v38, v10
	v_fmac_f32_e32 v15, 0x3e9e377a, v33
	v_add_f32_e32 v33, v30, v65
	v_fmac_f32_e32 v29, 0x3f737871, v34
	v_sub_f32_e32 v30, v61, v60
	v_sub_f32_e32 v37, v64, v65
	v_add_f32_e32 v38, v11, v63
	v_add_f32_e32 v39, v66, v67
	v_mul_f32_e32 v74, v107, v41
	v_fmac_f32_e32 v31, 0xbf167918, v36
	v_fmamk_f32 v35, v36, 0x3f737871, v10
	v_fmac_f32_e32 v29, 0x3f167918, v36
	v_add_f32_e32 v37, v30, v37
	v_fmac_f32_e32 v10, 0xbf737871, v36
	v_add_f32_e32 v36, v38, v66
	v_fma_f32 v30, -0.5, v39, v11
	v_sub_f32_e32 v38, v60, v65
	v_fmac_f32_e32 v74, v106, v40
	v_fmac_f32_e32 v31, 0x3e9e377a, v32
	;; [unrolled: 1-line block ×5, first 2 shown]
	v_add_f32_e32 v34, v36, v67
	v_fmamk_f32 v32, v38, 0x3f737871, v30
	v_add_f32_e32 v36, v63, v68
	v_sub_f32_e32 v39, v61, v64
	v_sub_f32_e32 v40, v63, v66
	;; [unrolled: 1-line block ×3, first 2 shown]
	v_fmac_f32_e32 v30, 0xbf737871, v38
	v_mul_f32_e32 v81, v119, v43
	v_fmac_f32_e32 v11, -0.5, v36
	v_fmac_f32_e32 v32, 0x3f167918, v39
	v_add_f32_e32 v40, v40, v41
	v_fmac_f32_e32 v30, 0xbf167918, v39
	v_add_f32_e32 v43, v4, v69
	v_fmac_f32_e32 v81, v118, v42
	v_mul_f32_e32 v25, v125, v47
	v_fmac_f32_e32 v35, 0x3e9e377a, v37
	v_fmac_f32_e32 v10, 0x3e9e377a, v37
	v_fmamk_f32 v36, v39, 0xbf737871, v11
	v_sub_f32_e32 v37, v66, v63
	v_sub_f32_e32 v41, v67, v68
	v_fmac_f32_e32 v32, 0x3e9e377a, v40
	v_add_f32_e32 v42, v70, v71
	v_fmac_f32_e32 v30, 0x3e9e377a, v40
	v_fmac_f32_e32 v11, 0x3f737871, v39
	v_add_f32_e32 v40, v43, v70
	v_mul_f32_e32 v75, v121, v45
	v_fmac_f32_e32 v25, v124, v46
	v_fmac_f32_e32 v36, 0x3f167918, v38
	v_add_f32_e32 v41, v37, v41
	v_fma_f32 v37, -0.5, v42, v4
	v_sub_f32_e32 v42, v72, v77
	v_sub_f32_e32 v43, v69, v70
	;; [unrolled: 1-line block ×3, first 2 shown]
	v_add_f32_e32 v46, v69, v74
	v_fmac_f32_e32 v11, 0xbf167918, v38
	v_add_f32_e32 v38, v40, v71
	v_fmac_f32_e32 v75, v120, v44
	v_fmac_f32_e32 v36, 0x3e9e377a, v41
	v_fmamk_f32 v39, v42, 0xbf737871, v37
	v_sub_f32_e32 v44, v73, v76
	v_add_f32_e32 v40, v43, v45
	v_fma_f32 v4, -0.5, v46, v4
	v_fmac_f32_e32 v11, 0x3e9e377a, v41
	v_add_f32_e32 v41, v38, v74
	v_fmac_f32_e32 v37, 0x3f737871, v42
	v_sub_f32_e32 v38, v70, v69
	v_sub_f32_e32 v45, v71, v74
	v_add_f32_e32 v46, v5, v72
	v_add_f32_e32 v47, v73, v76
	v_mul_f32_e32 v80, v117, v49
	v_fmac_f32_e32 v39, 0xbf167918, v44
	v_fmamk_f32 v43, v44, 0x3f737871, v4
	v_fmac_f32_e32 v37, 0x3f167918, v44
	v_add_f32_e32 v45, v38, v45
	v_fmac_f32_e32 v4, 0xbf737871, v44
	v_add_f32_e32 v44, v46, v73
	v_fma_f32 v38, -0.5, v47, v5
	v_sub_f32_e32 v46, v69, v74
	v_fmac_f32_e32 v80, v116, v48
	v_mul_f32_e32 v27, v113, v51
	v_fmac_f32_e32 v39, 0x3e9e377a, v40
	v_fmac_f32_e32 v43, 0xbf167918, v42
	;; [unrolled: 1-line block ×4, first 2 shown]
	v_add_f32_e32 v42, v44, v76
	v_fmamk_f32 v40, v46, 0x3f737871, v38
	v_add_f32_e32 v44, v72, v77
	v_sub_f32_e32 v47, v70, v71
	v_sub_f32_e32 v48, v72, v73
	;; [unrolled: 1-line block ×3, first 2 shown]
	v_fmac_f32_e32 v38, 0xbf737871, v46
	v_fmac_f32_e32 v27, v112, v50
	;; [unrolled: 1-line block ×4, first 2 shown]
	v_fma_f32 v5, -0.5, v44, v5
	v_fmac_f32_e32 v40, 0x3f167918, v47
	v_add_f32_e32 v48, v48, v49
	v_sub_f32_e32 v45, v73, v72
	v_sub_f32_e32 v49, v76, v77
	v_add_f32_e32 v50, v79, v80
	v_fmac_f32_e32 v38, 0xbf167918, v47
	v_add_f32_e32 v51, v6, v75
	v_mul_f32_e32 v85, v115, v53
	v_fmamk_f32 v44, v47, 0xbf737871, v5
	v_fmac_f32_e32 v40, 0x3e9e377a, v48
	v_add_f32_e32 v49, v45, v49
	v_fma_f32 v45, -0.5, v50, v6
	v_sub_f32_e32 v50, v78, v84
	v_fmac_f32_e32 v38, 0x3e9e377a, v48
	v_fmac_f32_e32 v5, 0x3f737871, v47
	v_add_f32_e32 v48, v51, v79
	v_add_f32_e32 v54, v75, v81
	v_fmac_f32_e32 v85, v114, v52
	v_fmac_f32_e32 v44, 0x3f167918, v46
	v_fmamk_f32 v47, v50, 0xbf737871, v45
	v_sub_f32_e32 v52, v82, v83
	v_sub_f32_e32 v51, v75, v79
	;; [unrolled: 1-line block ×3, first 2 shown]
	v_fmac_f32_e32 v5, 0xbf167918, v46
	v_add_f32_e32 v46, v48, v80
	v_fma_f32 v6, -0.5, v54, v6
	v_fmac_f32_e32 v45, 0x3f737871, v50
	v_add_f32_e32 v54, v7, v78
	v_fmac_f32_e32 v44, 0x3e9e377a, v49
	v_fmac_f32_e32 v47, 0xbf167918, v52
	v_add_f32_e32 v48, v51, v53
	v_fmac_f32_e32 v5, 0x3e9e377a, v49
	v_add_f32_e32 v49, v46, v81
	v_fmamk_f32 v51, v52, 0x3f737871, v6
	v_sub_f32_e32 v46, v79, v75
	v_sub_f32_e32 v53, v80, v81
	v_fmac_f32_e32 v45, 0x3f167918, v52
	v_add_f32_e32 v55, v82, v83
	v_fmac_f32_e32 v6, 0xbf737871, v52
	v_add_f32_e32 v52, v54, v82
	;; [unrolled: 2-line block ×3, first 2 shown]
	v_fma_f32 v46, -0.5, v55, v7
	v_sub_f32_e32 v54, v75, v81
	v_fmac_f32_e32 v6, 0x3f167918, v50
	v_add_f32_e32 v50, v52, v83
	v_add_f32_e32 v52, v78, v84
	v_sub_f32_e32 v56, v78, v82
	v_sub_f32_e32 v57, v84, v83
	v_fmac_f32_e32 v47, 0x3e9e377a, v48
	v_fmac_f32_e32 v45, 0x3e9e377a, v48
	;; [unrolled: 1-line block ×3, first 2 shown]
	v_fmamk_f32 v48, v54, 0x3f737871, v46
	v_sub_f32_e32 v55, v79, v80
	v_fmac_f32_e32 v6, 0x3e9e377a, v53
	v_fmac_f32_e32 v7, -0.5, v52
	v_add_f32_e32 v56, v56, v57
	v_fmac_f32_e32 v46, 0xbf737871, v54
	v_sub_f32_e32 v53, v82, v78
	v_sub_f32_e32 v57, v83, v84
	v_add_f32_e32 v58, v24, v27
	v_fmac_f32_e32 v48, 0x3f167918, v55
	v_fmamk_f32 v52, v55, 0xbf737871, v7
	v_fmac_f32_e32 v46, 0xbf167918, v55
	v_add_f32_e32 v57, v53, v57
	v_fmac_f32_e32 v7, 0x3f737871, v55
	v_add_f32_e32 v55, v0, v25
	v_fma_f32 v53, -0.5, v58, v0
	v_sub_f32_e32 v58, v18, v28
	v_fmac_f32_e32 v48, 0x3e9e377a, v56
	v_fmac_f32_e32 v52, 0x3f167918, v54
	;; [unrolled: 1-line block ×4, first 2 shown]
	v_add_f32_e32 v54, v55, v24
	v_fmamk_f32 v55, v58, 0xbf737871, v53
	v_sub_f32_e32 v56, v19, v26
	v_sub_f32_e32 v59, v25, v24
	;; [unrolled: 1-line block ×3, first 2 shown]
	v_fmac_f32_e32 v53, 0x3f737871, v58
	v_add_f32_e32 v61, v25, v85
	v_add_f32_e32 v54, v54, v27
	v_fmac_f32_e32 v55, 0xbf167918, v56
	v_add_f32_e32 v59, v59, v60
	v_fmac_f32_e32 v53, 0x3f167918, v56
	v_fma_f32 v0, -0.5, v61, v0
	v_sub_f32_e32 v60, v24, v25
	v_sub_f32_e32 v61, v27, v85
	v_fmac_f32_e32 v52, 0x3e9e377a, v57
	v_fmac_f32_e32 v7, 0x3e9e377a, v57
	v_add_f32_e32 v57, v54, v85
	v_fmac_f32_e32 v55, 0x3e9e377a, v59
	v_fmac_f32_e32 v53, 0x3e9e377a, v59
	v_fmamk_f32 v59, v56, 0x3f737871, v0
	v_add_f32_e32 v54, v19, v26
	v_fmac_f32_e32 v0, 0xbf737871, v56
	v_add_f32_e32 v56, v1, v18
	v_add_f32_e32 v60, v60, v61
	;; [unrolled: 1-line block ×3, first 2 shown]
	v_fma_f32 v54, -0.5, v54, v1
	v_sub_f32_e32 v25, v25, v85
	v_fmac_f32_e32 v59, 0xbf167918, v58
	v_fmac_f32_e32 v0, 0x3f167918, v58
	v_add_f32_e32 v58, v56, v19
	v_sub_f32_e32 v24, v24, v27
	v_fmac_f32_e32 v1, -0.5, v61
	v_fmamk_f32 v56, v25, 0x3f737871, v54
	v_sub_f32_e32 v61, v28, v26
	v_add_f32_e32 v27, v58, v26
	v_sub_f32_e32 v58, v18, v19
	v_fmac_f32_e32 v59, 0x3e9e377a, v60
	v_fmac_f32_e32 v0, 0x3e9e377a, v60
	v_fmamk_f32 v60, v24, 0xbf737871, v1
	v_sub_f32_e32 v18, v19, v18
	v_sub_f32_e32 v19, v26, v28
	v_fmac_f32_e32 v1, 0x3f737871, v24
	v_fmac_f32_e32 v54, 0xbf737871, v25
	;; [unrolled: 1-line block ×3, first 2 shown]
	v_add_f32_e32 v26, v58, v61
	v_fmac_f32_e32 v60, 0x3f167918, v25
	v_add_f32_e32 v18, v18, v19
	v_fmac_f32_e32 v1, 0xbf167918, v25
	v_fmac_f32_e32 v54, 0xbf167918, v24
	v_add_f32_e32 v42, v42, v77
	v_add_f32_e32 v50, v50, v84
	;; [unrolled: 1-line block ×4, first 2 shown]
	v_fmac_f32_e32 v56, 0x3e9e377a, v26
	v_fmac_f32_e32 v60, 0x3e9e377a, v18
	ds_write_b64 v235, v[12:13] offset:2200
	ds_write_b64 v235, v[16:17] offset:4400
	;; [unrolled: 1-line block ×4, first 2 shown]
	ds_write2_b64 v235, v[8:9], v[33:34] offset1:55
	ds_write2_b64 v23, v[31:32], v[39:40] offset0:74 offset1:129
	ds_write2_b64 v22, v[35:36], v[43:44] offset0:93 offset1:148
	;; [unrolled: 1-line block ×4, first 2 shown]
	v_add_nc_u32_e32 v44, 0x1400, v235
	v_fmac_f32_e32 v1, 0x3e9e377a, v18
	v_fmac_f32_e32 v54, 0x3e9e377a, v26
	v_add_nc_u32_e32 v62, 0x2400, v235
	ds_write2_b64 v235, v[41:42], v[49:50] offset0:110 offset1:165
	ds_write_b64 v235, v[57:58] offset:1760
	ds_write2_b64 v23, v[47:48], v[55:56] offset0:184 offset1:239
	ds_write2_b64 v44, v[51:52], v[59:60] offset0:75 offset1:130
	;; [unrolled: 1-line block ×4, first 2 shown]
	s_waitcnt lgkmcnt(0)
	s_barrier
	buffer_gl0_inv
	ds_read2_b64 v[2:5], v235 offset1:55
	ds_read2_b64 v[6:9], v235 offset0:125 offset1:180
	s_clause 0x2
	buffer_load_dword v10, off, s[20:23], 0 offset:100
	buffer_load_dword v11, off, s[20:23], 0 offset:104
	buffer_load_dword v25, off, s[20:23], 0
	v_add_nc_u32_e32 v24, 0xc00, v235
	ds_read2_b64 v[28:31], v22 offset0:113 offset1:168
	ds_read2_b64 v[14:17], v23 offset0:119 offset1:174
	s_waitcnt lgkmcnt(3)
	v_mul_f32_e32 v0, v220, v3
	v_mul_f32_e32 v1, v220, v2
	s_waitcnt lgkmcnt(2)
	v_mul_f32_e32 v12, v232, v6
	v_fmac_f32_e32 v0, v219, v2
	v_fma_f32 v2, v219, v3, -v1
	s_waitcnt lgkmcnt(0)
	v_mul_f32_e32 v40, v228, v15
	v_mul_f32_e32 v45, v230, v29
	v_cvt_f64_f32_e32 v[0:1], v0
	v_cvt_f64_f32_e32 v[2:3], v2
	v_fmac_f32_e32 v40, v227, v14
	v_fmac_f32_e32 v45, v229, v28
	v_mul_f32_e32 v14, v228, v14
	v_cvt_f64_f32_e32 v[40:41], v40
	v_fma_f32 v14, v227, v15, -v14
	v_cvt_f64_f32_e32 v[14:15], v14
	v_mul_f64 v[0:1], v[0:1], s[2:3]
	v_mul_f64 v[2:3], v[2:3], s[2:3]
	;; [unrolled: 1-line block ×4, first 2 shown]
	v_cvt_f32_f64_e32 v0, v[0:1]
	v_cvt_f32_f64_e32 v1, v[2:3]
	;; [unrolled: 1-line block ×4, first 2 shown]
	s_waitcnt vmcnt(1)
	v_mov_b32_e32 v11, v10
	s_waitcnt vmcnt(0)
	v_mad_u64_u32 v[32:33], null, s8, v25, 0
	v_mad_u64_u32 v[18:19], null, s10, v11, 0
	v_mov_b32_e32 v10, v19
	v_mad_u64_u32 v[10:11], null, s11, v11, v[10:11]
	v_mul_f32_e32 v11, v232, v7
	v_fma_f32 v7, v231, v7, -v12
	v_fmac_f32_e32 v11, v231, v6
	v_mov_b32_e32 v19, v10
	v_mov_b32_e32 v6, v33
	v_cvt_f64_f32_e32 v[36:37], v7
	v_cvt_f64_f32_e32 v[34:35], v11
	ds_read2_b64 v[10:13], v129 offset0:122 offset1:177
	v_mad_u64_u32 v[6:7], null, s9, v25, v[6:7]
	ds_read2_b64 v[24:27], v24 offset0:116 offset1:171
	v_lshlrev_b64 v[18:19], 3, v[18:19]
	v_mov_b32_e32 v33, v6
	v_add_co_u32 v2, s0, s14, v18
	v_add_co_ci_u32_e64 v3, s0, s15, v19, s0
	v_lshlrev_b64 v[6:7], 3, v[32:33]
	v_mul_f64 v[36:37], v[36:37], s[2:3]
	s_waitcnt lgkmcnt(1)
	v_mul_f32_e32 v32, v213, v11
	v_mul_f32_e32 v33, v213, v10
	v_mul_f64 v[18:19], v[34:35], s[2:3]
	s_waitcnt lgkmcnt(0)
	v_mul_f32_e32 v34, v226, v25
	v_add_co_u32 v6, s0, v2, v6
	v_fmac_f32_e32 v32, v212, v10
	v_fma_f32 v33, v212, v11, -v33
	v_fmac_f32_e32 v34, v225, v24
	v_mul_f32_e32 v24, v226, v24
	v_add_co_ci_u32_e64 v7, s0, v3, v7, s0
	v_cvt_f64_f32_e32 v[10:11], v32
	v_mul_f32_e32 v32, v230, v28
	v_cvt_f64_f32_e32 v[38:39], v33
	v_cvt_f64_f32_e32 v[42:43], v34
	v_fma_f32 v24, v225, v25, -v24
	global_store_dwordx2 v[6:7], v[0:1], off
	v_fma_f32 v46, v229, v29, -v32
	ds_read2_b64 v[32:35], v44 offset0:110 offset1:165
	v_cvt_f64_f32_e32 v[28:29], v45
	v_cvt_f64_f32_e32 v[24:25], v24
	v_cvt_f32_f64_e32 v1, v[36:37]
	v_cvt_f64_f32_e32 v[44:45], v46
	v_cvt_f32_f64_e32 v0, v[18:19]
	s_mul_i32 s0, s9, 0x7d
	s_add_i32 s1, s1, s0
	s_mul_i32 s0, s8, 0x7d
	s_lshl_b64 s[4:5], s[0:1], 3
	s_mul_i32 s1, s9, 0xfffffb55
	v_add_co_u32 v6, s0, v6, s4
	v_mul_f64 v[10:11], v[10:11], s[2:3]
	v_add_co_ci_u32_e64 v7, s0, s5, v7, s0
	v_mul_f64 v[18:19], v[38:39], s[2:3]
	v_mul_f64 v[50:51], v[42:43], s[2:3]
	s_waitcnt lgkmcnt(0)
	v_mul_f32_e32 v36, v222, v33
	v_mul_f32_e32 v37, v222, v32
	v_mul_f64 v[28:29], v[28:29], s[2:3]
	v_mul_f64 v[24:25], v[24:25], s[2:3]
	v_fmac_f32_e32 v36, v221, v32
	v_fma_f32 v37, v221, v33, -v37
	v_mul_f64 v[32:33], v[44:45], s[2:3]
	v_cvt_f64_f32_e32 v[52:53], v36
	v_cvt_f64_f32_e32 v[54:55], v37
	ds_read2_b64 v[36:39], v21 offset0:107 offset1:162
	ds_read2_b64 v[40:43], v128 offset0:104 offset1:159
	;; [unrolled: 1-line block ×3, first 2 shown]
	v_cvt_f32_f64_e32 v10, v[10:11]
	v_cvt_f32_f64_e32 v11, v[18:19]
	;; [unrolled: 1-line block ×3, first 2 shown]
	v_add_co_u32 v18, s0, v6, s4
	v_add_co_ci_u32_e64 v19, s0, s5, v7, s0
	v_cvt_f32_f64_e32 v59, v[24:25]
	v_cvt_f32_f64_e32 v24, v[28:29]
	v_add_co_u32 v14, s0, v18, s4
	v_cvt_f32_f64_e32 v25, v[32:33]
	v_add_co_ci_u32_e64 v15, s0, s5, v19, s0
	s_waitcnt lgkmcnt(2)
	v_mul_f32_e32 v48, v224, v37
	s_waitcnt lgkmcnt(1)
	v_mul_f32_e32 v50, v217, v40
	v_mul_f64 v[28:29], v[52:53], s[2:3]
	v_mul_f64 v[32:33], v[54:55], s[2:3]
	s_waitcnt lgkmcnt(0)
	v_mul_f32_e32 v51, v215, v45
	v_fmac_f32_e32 v48, v223, v36
	v_mul_f32_e32 v49, v217, v41
	v_mul_f32_e32 v36, v224, v36
	v_fmac_f32_e32 v51, v214, v44
	v_cvt_f64_f32_e32 v[52:53], v48
	v_fma_f32 v48, v216, v41, -v50
	v_mul_f32_e32 v44, v215, v44
	v_fmac_f32_e32 v49, v216, v40
	v_cvt_f64_f32_e32 v[60:61], v51
	v_fma_f32 v36, v223, v37, -v36
	v_cvt_f64_f32_e32 v[54:55], v48
	v_fma_f32 v63, v214, v45, -v44
	v_add_co_u32 v44, s0, v14, s4
	v_add_co_ci_u32_e64 v45, s0, s5, v15, s0
	v_cvt_f64_f32_e32 v[40:41], v49
	v_add_co_u32 v64, s0, v44, s4
	v_add_co_ci_u32_e64 v65, s0, s5, v45, s0
	ds_read2_b64 v[48:51], v62 offset0:98 offset1:153
	global_store_dwordx2 v[6:7], v[0:1], off
	global_store_dwordx2 v[18:19], v[10:11], off
	;; [unrolled: 1-line block ×5, first 2 shown]
	v_cvt_f64_f32_e32 v[36:37], v36
	v_cvt_f64_f32_e32 v[62:63], v63
	v_cvt_f32_f64_e32 v0, v[28:29]
	v_cvt_f32_f64_e32 v1, v[32:33]
	v_mul_f64 v[6:7], v[52:53], s[2:3]
	v_mul_f32_e32 v52, v207, v13
	v_mul_f32_e32 v53, v207, v12
	v_mul_f64 v[24:25], v[60:61], s[2:3]
	v_mul_f64 v[18:19], v[54:55], s[2:3]
	s_clause 0x1
	buffer_load_dword v54, off, s[20:23], 0 offset:68
	buffer_load_dword v55, off, s[20:23], 0 offset:72
	v_fmac_f32_e32 v52, v206, v12
	v_fma_f32 v53, v206, v13, -v53
	v_mul_f64 v[14:15], v[40:41], s[2:3]
	v_mul_f32_e32 v40, v209, v5
	s_waitcnt lgkmcnt(0)
	v_mul_f32_e32 v32, v211, v49
	v_mul_f32_e32 v28, v211, v48
	v_fmac_f32_e32 v40, v208, v4
	v_mul_f64 v[10:11], v[36:37], s[2:3]
	v_fmac_f32_e32 v32, v210, v48
	v_fma_f32 v36, v210, v49, -v28
	v_mul_f64 v[28:29], v[62:63], s[2:3]
	v_mul_f32_e32 v4, v209, v4
	v_cvt_f64_f32_e32 v[40:41], v40
	v_cvt_f64_f32_e32 v[32:33], v32
	;; [unrolled: 1-line block ×3, first 2 shown]
	v_cvt_f32_f64_e32 v6, v[6:7]
	v_fma_f32 v44, v208, v5, -v4
	v_cvt_f32_f64_e32 v24, v[24:25]
	v_add_co_u32 v4, s0, v64, s4
	v_add_co_ci_u32_e64 v5, s0, s5, v65, s0
	v_cvt_f64_f32_e32 v[44:45], v44
	v_cvt_f32_f64_e32 v14, v[14:15]
	v_cvt_f32_f64_e32 v15, v[18:19]
	;; [unrolled: 1-line block ×3, first 2 shown]
	v_add_co_u32 v10, s0, v4, s4
	v_cvt_f32_f64_e32 v25, v[28:29]
	v_add_co_ci_u32_e64 v11, s0, s5, v5, s0
	v_mul_f64 v[28:29], v[32:33], s[2:3]
	v_mul_f64 v[32:33], v[36:37], s[2:3]
	v_add_co_u32 v18, s0, v10, s4
	v_add_co_ci_u32_e64 v19, s0, s5, v11, s0
	v_mul_f64 v[36:37], v[40:41], s[2:3]
	v_mul_f64 v[40:41], v[44:45], s[2:3]
	s_waitcnt vmcnt(0)
	v_mul_f32_e32 v48, v55, v9
	v_mul_f32_e32 v49, v55, v8
	v_fmac_f32_e32 v48, v54, v8
	v_add_co_u32 v8, s0, v18, s4
	v_fma_f32 v44, v54, v9, -v49
	v_add_co_ci_u32_e64 v9, s0, s5, v19, s0
	global_store_dwordx2 v[4:5], v[0:1], off
	global_store_dwordx2 v[10:11], v[6:7], off
	;; [unrolled: 1-line block ×4, first 2 shown]
	v_cvt_f32_f64_e32 v1, v[32:33]
	s_clause 0x1
	buffer_load_dword v32, off, s[20:23], 0 offset:60
	buffer_load_dword v33, off, s[20:23], 0 offset:64
	v_cvt_f64_f32_e32 v[12:13], v48
	v_cvt_f64_f32_e32 v[48:49], v52
	v_cvt_f64_f32_e32 v[52:53], v53
	v_add_co_u32 v4, s0, v8, s4
	v_cvt_f32_f64_e32 v0, v[28:29]
	v_add_co_ci_u32_e64 v5, s0, s5, v9, s0
	v_cvt_f32_f64_e32 v6, v[36:37]
	v_cvt_f32_f64_e32 v7, v[40:41]
	s_clause 0x1
	buffer_load_dword v36, off, s[20:23], 0 offset:92
	buffer_load_dword v37, off, s[20:23], 0 offset:96
	s_mul_hi_u32 s0, s8, 0xfffffb55
	v_cvt_f64_f32_e32 v[44:45], v44
	s_sub_i32 s0, s0, s8
	s_add_i32 s1, s0, s1
	s_mul_i32 s0, s8, 0xfffffb55
	s_lshl_b64 s[10:11], s[0:1], 3
	v_mul_f64 v[8:9], v[12:13], s[2:3]
	v_mul_f64 v[12:13], v[48:49], s[2:3]
	;; [unrolled: 1-line block ×4, first 2 shown]
	s_waitcnt vmcnt(2)
	v_mul_f32_e32 v18, v33, v17
	v_fmac_f32_e32 v18, v32, v16
	v_mul_f32_e32 v16, v33, v16
	v_cvt_f64_f32_e32 v[18:19], v18
	v_fma_f32 v25, v32, v17, -v16
	v_add_co_u32 v16, s0, v4, s10
	v_add_co_ci_u32_e64 v17, s0, s11, v5, s0
	global_store_dwordx2 v[4:5], v[0:1], off
	global_store_dwordx2 v[16:17], v[6:7], off
	v_cvt_f32_f64_e32 v6, v[12:13]
	v_cvt_f32_f64_e32 v7, v[14:15]
	s_clause 0x1
	buffer_load_dword v13, off, s[20:23], 0 offset:52
	buffer_load_dword v14, off, s[20:23], 0 offset:56
	s_waitcnt vmcnt(2)
	v_mul_f32_e32 v28, v37, v27
	v_mul_f32_e32 v24, v37, v26
	v_add_co_u32 v4, s0, v16, s4
	v_cvt_f32_f64_e32 v1, v[10:11]
	v_fmac_f32_e32 v28, v36, v26
	v_fma_f32 v29, v36, v27, -v24
	v_cvt_f64_f32_e32 v[24:25], v25
	v_add_co_ci_u32_e64 v5, s0, s5, v17, s0
	v_cvt_f64_f32_e32 v[26:27], v28
	v_cvt_f64_f32_e32 v[28:29], v29
	v_mul_f64 v[10:11], v[18:19], s[2:3]
	v_cvt_f32_f64_e32 v0, v[8:9]
	v_add_co_u32 v8, s0, v4, s4
	v_add_co_ci_u32_e64 v9, s0, s5, v5, s0
	v_mul_f64 v[16:17], v[28:29], s[2:3]
	s_waitcnt vmcnt(0)
	v_mul_f32_e32 v32, v14, v31
	v_mul_f32_e32 v12, v14, v30
	v_mul_f64 v[14:15], v[26:27], s[2:3]
	v_fmac_f32_e32 v32, v13, v30
	v_fma_f32 v30, v13, v31, -v12
	v_mul_f64 v[12:13], v[24:25], s[2:3]
	v_cvt_f64_f32_e32 v[18:19], v32
	v_cvt_f64_f32_e32 v[24:25], v30
	s_clause 0x7
	buffer_load_dword v29, off, s[20:23], 0 offset:44
	buffer_load_dword v30, off, s[20:23], 0 offset:48
	;; [unrolled: 1-line block ×8, first 2 shown]
	global_store_dwordx2 v[4:5], v[0:1], off
	global_store_dwordx2 v[8:9], v[6:7], off
	v_cvt_f32_f64_e32 v0, v[10:11]
	v_add_co_u32 v8, s0, v8, s4
	v_add_co_ci_u32_e64 v9, s0, s5, v9, s0
	v_cvt_f32_f64_e32 v14, v[14:15]
	v_cvt_f32_f64_e32 v15, v[16:17]
	;; [unrolled: 1-line block ×3, first 2 shown]
	v_mul_f64 v[4:5], v[18:19], s[2:3]
	v_mul_f64 v[6:7], v[24:25], s[2:3]
	global_store_dwordx2 v[8:9], v[0:1], off
	v_cvt_f32_f64_e32 v4, v[4:5]
	v_cvt_f32_f64_e32 v5, v[6:7]
	s_waitcnt vmcnt(6)
	v_mul_f32_e32 v26, v30, v35
	v_mul_f32_e32 v27, v30, v34
	s_waitcnt vmcnt(2)
	v_mul_f32_e32 v36, v45, v43
	v_mul_f32_e32 v30, v32, v39
	;; [unrolled: 1-line block ×3, first 2 shown]
	v_fmac_f32_e32 v26, v29, v34
	v_fma_f32 v29, v29, v35, -v27
	v_fmac_f32_e32 v36, v44, v42
	v_fmac_f32_e32 v30, v31, v38
	s_waitcnt vmcnt(0)
	v_mul_f32_e32 v38, v41, v47
	v_mul_f32_e32 v37, v41, v46
	v_fma_f32 v32, v31, v39, -v28
	v_cvt_f64_f32_e32 v[34:35], v36
	v_mul_f32_e32 v36, v45, v42
	v_mul_f32_e32 v42, v205, v51
	;; [unrolled: 1-line block ×3, first 2 shown]
	v_cvt_f64_f32_e32 v[26:27], v26
	v_cvt_f64_f32_e32 v[28:29], v29
	v_fmac_f32_e32 v38, v40, v46
	v_fma_f32 v36, v44, v43, -v36
	v_fma_f32 v40, v40, v47, -v37
	v_fmac_f32_e32 v42, v204, v50
	v_fma_f32 v44, v204, v51, -v39
	v_cvt_f64_f32_e32 v[30:31], v30
	v_cvt_f64_f32_e32 v[32:33], v32
	;; [unrolled: 1-line block ×7, first 2 shown]
	v_mul_f64 v[24:25], v[34:35], s[2:3]
	v_mul_f64 v[10:11], v[26:27], s[2:3]
	;; [unrolled: 1-line block ×10, first 2 shown]
	v_add_co_u32 v36, s0, v8, s4
	v_add_co_ci_u32_e64 v37, s0, s5, v9, s0
	v_add_co_u32 v6, s0, v36, s4
	v_add_co_ci_u32_e64 v7, s0, s5, v37, s0
	v_cvt_f32_f64_e32 v10, v[10:11]
	v_cvt_f32_f64_e32 v11, v[12:13]
	v_add_co_u32 v12, s0, v6, s4
	v_add_co_ci_u32_e64 v13, s0, s5, v7, s0
	v_cvt_f32_f64_e32 v16, v[16:17]
	v_cvt_f32_f64_e32 v17, v[18:19]
	;; [unrolled: 1-line block ×4, first 2 shown]
	v_add_co_u32 v28, s0, v12, s4
	v_cvt_f32_f64_e32 v19, v[26:27]
	v_add_co_ci_u32_e64 v29, s0, s5, v13, s0
	v_cvt_f32_f64_e32 v25, v[30:31]
	v_cvt_f32_f64_e32 v26, v[32:33]
	;; [unrolled: 1-line block ×3, first 2 shown]
	v_add_co_u32 v8, s0, v28, s4
	v_add_co_ci_u32_e64 v9, s0, s5, v29, s0
	global_store_dwordx2 v[36:37], v[14:15], off
	v_add_co_u32 v14, s0, v8, s4
	v_add_co_ci_u32_e64 v15, s0, s5, v9, s0
	global_store_dwordx2 v[6:7], v[4:5], off
	;; [unrolled: 3-line block ×3, first 2 shown]
	global_store_dwordx2 v[28:29], v[16:17], off
	global_store_dwordx2 v[8:9], v[18:19], off
	;; [unrolled: 1-line block ×4, first 2 shown]
	s_and_b32 exec_lo, exec_lo, vcc_lo
	s_cbranch_execz .LBB0_15
; %bb.14:
	global_load_dwordx2 v[8:9], v[178:179], off offset:880
	ds_read2_b64 v[4:7], v235 offset0:110 offset1:235
	v_add_co_u32 v0, vcc_lo, v0, s10
	v_add_co_ci_u32_e32 v1, vcc_lo, s11, v1, vcc_lo
	s_waitcnt vmcnt(0) lgkmcnt(0)
	v_mul_f32_e32 v10, v5, v9
	v_mul_f32_e32 v9, v4, v9
	v_fmac_f32_e32 v10, v4, v8
	v_fma_f32 v8, v8, v5, -v9
	v_cvt_f64_f32_e32 v[4:5], v10
	v_cvt_f64_f32_e32 v[8:9], v8
	v_mul_f64 v[4:5], v[4:5], s[2:3]
	v_mul_f64 v[8:9], v[8:9], s[2:3]
	v_cvt_f32_f64_e32 v4, v[4:5]
	v_cvt_f32_f64_e32 v5, v[8:9]
	global_store_dwordx2 v[0:1], v[4:5], off
	global_load_dwordx2 v[4:5], v[178:179], off offset:1880
	v_add_co_u32 v0, vcc_lo, v0, s4
	v_add_co_ci_u32_e32 v1, vcc_lo, s5, v1, vcc_lo
	s_waitcnt vmcnt(0)
	v_mul_f32_e32 v8, v7, v5
	v_mul_f32_e32 v5, v6, v5
	v_fmac_f32_e32 v8, v6, v4
	v_fma_f32 v6, v4, v7, -v5
	v_cvt_f64_f32_e32 v[4:5], v8
	v_cvt_f64_f32_e32 v[6:7], v6
	v_mul_f64 v[4:5], v[4:5], s[2:3]
	v_mul_f64 v[6:7], v[6:7], s[2:3]
	v_cvt_f32_f64_e32 v4, v[4:5]
	v_cvt_f32_f64_e32 v5, v[6:7]
	global_store_dwordx2 v[0:1], v[4:5], off
	s_clause 0x1
	buffer_load_dword v11, off, s[20:23], 0 offset:28
	buffer_load_dword v12, off, s[20:23], 0 offset:32
	ds_read2_b64 v[4:7], v23 offset0:104 offset1:229
	v_add_co_u32 v0, vcc_lo, v0, s4
	v_add_co_ci_u32_e32 v1, vcc_lo, s5, v1, vcc_lo
	s_waitcnt vmcnt(0)
	global_load_dwordx2 v[8:9], v[11:12], off offset:832
	s_waitcnt vmcnt(0) lgkmcnt(0)
	v_mul_f32_e32 v10, v5, v9
	v_mul_f32_e32 v9, v4, v9
	v_fmac_f32_e32 v10, v4, v8
	v_fma_f32 v8, v8, v5, -v9
	v_cvt_f64_f32_e32 v[4:5], v10
	v_cvt_f64_f32_e32 v[8:9], v8
	v_mul_f64 v[4:5], v[4:5], s[2:3]
	v_mul_f64 v[8:9], v[8:9], s[2:3]
	v_cvt_f32_f64_e32 v4, v[4:5]
	v_cvt_f32_f64_e32 v5, v[8:9]
	global_store_dwordx2 v[0:1], v[4:5], off
	global_load_dwordx2 v[4:5], v[11:12], off offset:1832
	v_add_co_u32 v0, vcc_lo, v0, s4
	v_add_co_ci_u32_e32 v1, vcc_lo, s5, v1, vcc_lo
	s_waitcnt vmcnt(0)
	v_mul_f32_e32 v8, v7, v5
	v_mul_f32_e32 v5, v6, v5
	v_fmac_f32_e32 v8, v6, v4
	v_fma_f32 v6, v4, v7, -v5
	v_cvt_f64_f32_e32 v[4:5], v8
	v_cvt_f64_f32_e32 v[6:7], v6
	v_mul_f64 v[4:5], v[4:5], s[2:3]
	v_mul_f64 v[6:7], v[6:7], s[2:3]
	v_cvt_f32_f64_e32 v4, v[4:5]
	v_cvt_f32_f64_e32 v5, v[6:7]
	global_store_dwordx2 v[0:1], v[4:5], off
	s_clause 0x1
	buffer_load_dword v11, off, s[20:23], 0 offset:20
	buffer_load_dword v12, off, s[20:23], 0 offset:24
	ds_read2_b64 v[4:7], v22 offset0:98 offset1:223
	v_add_co_u32 v0, vcc_lo, v0, s4
	v_add_co_ci_u32_e32 v1, vcc_lo, s5, v1, vcc_lo
	s_waitcnt vmcnt(0)
	global_load_dwordx2 v[8:9], v[11:12], off offset:784
	;; [unrolled: 35-line block ×4, first 2 shown]
	s_waitcnt vmcnt(0) lgkmcnt(0)
	v_mul_f32_e32 v10, v5, v9
	v_mul_f32_e32 v9, v4, v9
	v_fmac_f32_e32 v10, v4, v8
	v_fma_f32 v8, v8, v5, -v9
	v_cvt_f64_f32_e32 v[4:5], v10
	v_cvt_f64_f32_e32 v[8:9], v8
	v_mul_f64 v[4:5], v[4:5], s[2:3]
	v_mul_f64 v[8:9], v[8:9], s[2:3]
	v_cvt_f32_f64_e32 v4, v[4:5]
	v_cvt_f32_f64_e32 v5, v[8:9]
	global_store_dwordx2 v[0:1], v[4:5], off
	global_load_dwordx2 v[4:5], v[11:12], off offset:1688
	v_add_co_u32 v0, vcc_lo, v0, s4
	v_add_co_ci_u32_e32 v1, vcc_lo, s5, v1, vcc_lo
	s_waitcnt vmcnt(0)
	v_mul_f32_e32 v8, v7, v5
	v_mul_f32_e32 v5, v6, v5
	v_fmac_f32_e32 v8, v6, v4
	v_fma_f32 v6, v4, v7, -v5
	v_cvt_f64_f32_e32 v[4:5], v8
	buffer_load_dword v8, off, s[20:23], 0 offset:140 ; 4-byte Folded Reload
	v_cvt_f64_f32_e32 v[6:7], v6
	v_mul_f64 v[4:5], v[4:5], s[2:3]
	v_mul_f64 v[6:7], v[6:7], s[2:3]
	v_cvt_f32_f64_e32 v4, v[4:5]
	v_cvt_f32_f64_e32 v5, v[6:7]
	global_store_dwordx2 v[0:1], v[4:5], off
	ds_read_b64 v[4:5], v235 offset:10880
	s_waitcnt vmcnt(0)
	v_lshlrev_b32_e32 v6, 3, v8
	global_load_dwordx2 v[0:1], v6, s[6:7]
	s_waitcnt vmcnt(0) lgkmcnt(0)
	v_mul_f32_e32 v6, v5, v1
	v_mul_f32_e32 v1, v4, v1
	v_fmac_f32_e32 v6, v4, v0
	v_fma_f32 v4, v0, v5, -v1
	v_cvt_f64_f32_e32 v[0:1], v6
	v_cvt_f64_f32_e32 v[4:5], v4
	v_mad_u64_u32 v[6:7], null, s8, v8, 0
	v_mad_u64_u32 v[7:8], null, s9, v8, v[7:8]
	v_mul_f64 v[0:1], v[0:1], s[2:3]
	v_mul_f64 v[4:5], v[4:5], s[2:3]
	v_cvt_f32_f64_e32 v0, v[0:1]
	v_cvt_f32_f64_e32 v1, v[4:5]
	v_lshlrev_b64 v[4:5], 3, v[6:7]
	v_add_co_u32 v2, vcc_lo, v2, v4
	v_add_co_ci_u32_e32 v3, vcc_lo, v3, v5, vcc_lo
	global_store_dwordx2 v[2:3], v[0:1], off
.LBB0_15:
	s_endpgm
	.section	.rodata,"a",@progbits
	.p2align	6, 0x0
	.amdhsa_kernel bluestein_single_fwd_len1375_dim1_sp_op_CI_CI
		.amdhsa_group_segment_fixed_size 11000
		.amdhsa_private_segment_fixed_size 152
		.amdhsa_kernarg_size 104
		.amdhsa_user_sgpr_count 6
		.amdhsa_user_sgpr_private_segment_buffer 1
		.amdhsa_user_sgpr_dispatch_ptr 0
		.amdhsa_user_sgpr_queue_ptr 0
		.amdhsa_user_sgpr_kernarg_segment_ptr 1
		.amdhsa_user_sgpr_dispatch_id 0
		.amdhsa_user_sgpr_flat_scratch_init 0
		.amdhsa_user_sgpr_private_segment_size 0
		.amdhsa_wavefront_size32 1
		.amdhsa_uses_dynamic_stack 0
		.amdhsa_system_sgpr_private_segment_wavefront_offset 1
		.amdhsa_system_sgpr_workgroup_id_x 1
		.amdhsa_system_sgpr_workgroup_id_y 0
		.amdhsa_system_sgpr_workgroup_id_z 0
		.amdhsa_system_sgpr_workgroup_info 0
		.amdhsa_system_vgpr_workitem_id 0
		.amdhsa_next_free_vgpr 256
		.amdhsa_next_free_sgpr 24
		.amdhsa_reserve_vcc 1
		.amdhsa_reserve_flat_scratch 0
		.amdhsa_float_round_mode_32 0
		.amdhsa_float_round_mode_16_64 0
		.amdhsa_float_denorm_mode_32 3
		.amdhsa_float_denorm_mode_16_64 3
		.amdhsa_dx10_clamp 1
		.amdhsa_ieee_mode 1
		.amdhsa_fp16_overflow 0
		.amdhsa_workgroup_processor_mode 1
		.amdhsa_memory_ordered 1
		.amdhsa_forward_progress 0
		.amdhsa_shared_vgpr_count 0
		.amdhsa_exception_fp_ieee_invalid_op 0
		.amdhsa_exception_fp_denorm_src 0
		.amdhsa_exception_fp_ieee_div_zero 0
		.amdhsa_exception_fp_ieee_overflow 0
		.amdhsa_exception_fp_ieee_underflow 0
		.amdhsa_exception_fp_ieee_inexact 0
		.amdhsa_exception_int_div_zero 0
	.end_amdhsa_kernel
	.text
.Lfunc_end0:
	.size	bluestein_single_fwd_len1375_dim1_sp_op_CI_CI, .Lfunc_end0-bluestein_single_fwd_len1375_dim1_sp_op_CI_CI
                                        ; -- End function
	.section	.AMDGPU.csdata,"",@progbits
; Kernel info:
; codeLenInByte = 35712
; NumSgprs: 26
; NumVgprs: 256
; ScratchSize: 152
; MemoryBound: 0
; FloatMode: 240
; IeeeMode: 1
; LDSByteSize: 11000 bytes/workgroup (compile time only)
; SGPRBlocks: 3
; VGPRBlocks: 31
; NumSGPRsForWavesPerEU: 26
; NumVGPRsForWavesPerEU: 256
; Occupancy: 4
; WaveLimiterHint : 1
; COMPUTE_PGM_RSRC2:SCRATCH_EN: 1
; COMPUTE_PGM_RSRC2:USER_SGPR: 6
; COMPUTE_PGM_RSRC2:TRAP_HANDLER: 0
; COMPUTE_PGM_RSRC2:TGID_X_EN: 1
; COMPUTE_PGM_RSRC2:TGID_Y_EN: 0
; COMPUTE_PGM_RSRC2:TGID_Z_EN: 0
; COMPUTE_PGM_RSRC2:TIDIG_COMP_CNT: 0
	.text
	.p2alignl 6, 3214868480
	.fill 48, 4, 3214868480
	.type	__hip_cuid_248a1ebe0abd5037,@object ; @__hip_cuid_248a1ebe0abd5037
	.section	.bss,"aw",@nobits
	.globl	__hip_cuid_248a1ebe0abd5037
__hip_cuid_248a1ebe0abd5037:
	.byte	0                               ; 0x0
	.size	__hip_cuid_248a1ebe0abd5037, 1

	.ident	"AMD clang version 19.0.0git (https://github.com/RadeonOpenCompute/llvm-project roc-6.4.0 25133 c7fe45cf4b819c5991fe208aaa96edf142730f1d)"
	.section	".note.GNU-stack","",@progbits
	.addrsig
	.addrsig_sym __hip_cuid_248a1ebe0abd5037
	.amdgpu_metadata
---
amdhsa.kernels:
  - .args:
      - .actual_access:  read_only
        .address_space:  global
        .offset:         0
        .size:           8
        .value_kind:     global_buffer
      - .actual_access:  read_only
        .address_space:  global
        .offset:         8
        .size:           8
        .value_kind:     global_buffer
      - .actual_access:  read_only
        .address_space:  global
        .offset:         16
        .size:           8
        .value_kind:     global_buffer
      - .actual_access:  read_only
        .address_space:  global
        .offset:         24
        .size:           8
        .value_kind:     global_buffer
      - .actual_access:  read_only
        .address_space:  global
        .offset:         32
        .size:           8
        .value_kind:     global_buffer
      - .offset:         40
        .size:           8
        .value_kind:     by_value
      - .address_space:  global
        .offset:         48
        .size:           8
        .value_kind:     global_buffer
      - .address_space:  global
        .offset:         56
        .size:           8
        .value_kind:     global_buffer
      - .address_space:  global
        .offset:         64
        .size:           8
        .value_kind:     global_buffer
      - .address_space:  global
        .offset:         72
        .size:           8
        .value_kind:     global_buffer
      - .offset:         80
        .size:           4
        .value_kind:     by_value
      - .address_space:  global
        .offset:         88
        .size:           8
        .value_kind:     global_buffer
      - .address_space:  global
        .offset:         96
        .size:           8
        .value_kind:     global_buffer
    .group_segment_fixed_size: 11000
    .kernarg_segment_align: 8
    .kernarg_segment_size: 104
    .language:       OpenCL C
    .language_version:
      - 2
      - 0
    .max_flat_workgroup_size: 55
    .name:           bluestein_single_fwd_len1375_dim1_sp_op_CI_CI
    .private_segment_fixed_size: 152
    .sgpr_count:     26
    .sgpr_spill_count: 0
    .symbol:         bluestein_single_fwd_len1375_dim1_sp_op_CI_CI.kd
    .uniform_work_group_size: 1
    .uses_dynamic_stack: false
    .vgpr_count:     256
    .vgpr_spill_count: 37
    .wavefront_size: 32
    .workgroup_processor_mode: 1
amdhsa.target:   amdgcn-amd-amdhsa--gfx1030
amdhsa.version:
  - 1
  - 2
...

	.end_amdgpu_metadata
